;; amdgpu-corpus repo=zjin-lcf/HeCBench kind=compiled arch=gfx1201 opt=O3
	.amdgcn_target "amdgcn-amd-amdhsa--gfx1201"
	.amdhsa_code_object_version 6
	.text
	.protected	_Z14genScoreKerneliPfPKiPKf ; -- Begin function _Z14genScoreKerneliPfPKiPKf
	.globl	_Z14genScoreKerneliPfPKiPKf
	.p2align	8
	.type	_Z14genScoreKerneliPfPKiPKf,@function
_Z14genScoreKerneliPfPKiPKf:            ; @_Z14genScoreKerneliPfPKiPKf
; %bb.0:
	s_load_b32 s16, s[0:1], 0x0
	s_mov_b32 s4, 0
	v_lshl_add_u32 v7, ttmp9, 8, v0
	s_mov_b32 s5, s4
	s_mov_b32 s6, s4
	s_mov_b32 s7, s4
	v_dual_mov_b32 v12, 0 :: v_dual_mov_b32 v1, s4
	v_dual_mov_b32 v2, s5 :: v_dual_mov_b32 v3, s6
	v_mov_b32_e32 v4, s7
	s_clause 0xb
	scratch_store_b32 off, v12, off offset:176
	scratch_store_b128 off, v[1:4], off offset:160
	scratch_store_b128 off, v[1:4], off offset:144
	;; [unrolled: 1-line block ×10, first 2 shown]
	scratch_store_b128 off, v[1:4], off
	s_mov_b32 s2, exec_lo
	s_wait_kmcnt 0x0
	v_cmpx_gt_i32_e64 s16, v7
	s_cbranch_execz .LBB0_193
; %bb.1:
	v_mov_b32_e32 v13, -1
	s_mov_b32 s3, exec_lo
	s_delay_alu instid0(VALU_DEP_1)
	v_dual_mov_b32 v14, v13 :: v_dual_mov_b32 v15, v13
	v_mov_b32_e32 v16, v13
	v_cmpx_ne_u32_e32 0, v7
	s_cbranch_execz .LBB0_39
; %bb.2:
	v_mov_b32_e32 v2, 0
	v_mov_b32_e32 v0, 1
	s_mov_b32 s2, exec_lo
	v_cmpx_lt_i32_e32 0, v7
	s_cbranch_execz .LBB0_10
; %bb.3:
	s_mov_b32 s5, 1
	s_mov_b32 s6, 0
.LBB0_4:                                ; =>This Loop Header: Depth=1
                                        ;     Child Loop BB0_5 Depth 2
                                        ;     Child Loop BB0_7 Depth 2
	s_mov_b32 s8, 44
	s_mov_b32 s7, 1
.LBB0_5:                                ;   Parent Loop BB0_4 Depth=1
                                        ; =>  This Inner Loop Header: Depth=2
	s_wait_alu 0xfffe
	s_mul_i32 s7, s7, s8
	s_add_co_i32 s8, s8, -1
	s_delay_alu instid0(SALU_CYCLE_1) | instskip(NEXT) | instid1(SALU_CYCLE_1)
	s_add_co_i32 s9, s5, s8
	s_cmp_lg_u32 s9, 44
	s_cbranch_scc1 .LBB0_5
; %bb.6:                                ;   in Loop: Header=BB0_4 Depth=1
	s_mov_b32 s8, s5
.LBB0_7:                                ;   Parent Loop BB0_4 Depth=1
                                        ; =>  This Inner Loop Header: Depth=2
	s_delay_alu instid0(SALU_CYCLE_1)
	s_abs_i32 s9, s8
	s_wait_alu 0xfffe
	s_abs_i32 s12, s7
	s_cvt_f32_u32 s10, s9
	s_sub_co_i32 s11, 0, s9
	s_xor_b32 s7, s7, s8
	s_wait_alu 0xfffe
	s_ashr_i32 s7, s7, 31
	v_rcp_iflag_f32_e32 v0, s10
	s_delay_alu instid0(TRANS32_DEP_1) | instskip(SKIP_2) | instid1(SALU_CYCLE_2)
	v_readfirstlane_b32 s10, v0
	s_mul_f32 s10, s10, 0x4f7ffffe
	s_wait_alu 0xfffe
	s_cvt_u32_f32 s10, s10
	s_wait_alu 0xfffe
	s_delay_alu instid0(SALU_CYCLE_2)
	s_mul_i32 s11, s11, s10
	s_wait_alu 0xfffe
	s_mul_hi_u32 s11, s10, s11
	s_wait_alu 0xfffe
	s_add_co_i32 s10, s10, s11
	s_wait_alu 0xfffe
	s_mul_hi_u32 s10, s12, s10
	s_wait_alu 0xfffe
	s_mul_i32 s11, s10, s9
	s_wait_alu 0xfffe
	s_sub_co_i32 s11, s12, s11
	s_add_co_i32 s12, s10, 1
	s_wait_alu 0xfffe
	s_sub_co_i32 s13, s11, s9
	s_cmp_ge_u32 s11, s9
	s_cselect_b32 s10, s12, s10
	s_cselect_b32 s11, s13, s11
	s_wait_alu 0xfffe
	s_add_co_i32 s12, s10, 1
	s_cmp_ge_u32 s11, s9
	s_cselect_b32 s9, s12, s10
	s_add_co_i32 s8, s8, -1
	s_xor_b32 s9, s9, s7
	s_delay_alu instid0(SALU_CYCLE_1)
	s_sub_co_i32 s7, s9, s7
	s_cmp_lg_u32 s8, 0
	s_cbranch_scc1 .LBB0_7
; %bb.8:                                ;   in Loop: Header=BB0_4 Depth=1
	s_wait_alu 0xfffe
	s_add_co_i32 s6, s7, s6
	s_add_co_i32 s5, s5, 1
	s_wait_alu 0xfffe
	v_cmp_ge_i32_e32 vcc_lo, s6, v7
	v_mov_b32_e32 v0, s5
	v_mov_b32_e32 v2, s6
	s_or_b32 s4, vcc_lo, s4
	s_wait_alu 0xfffe
	s_and_not1_b32 exec_lo, exec_lo, s4
	s_cbranch_execnz .LBB0_4
; %bb.9:
	s_or_b32 exec_lo, exec_lo, s4
.LBB0_10:
	s_delay_alu instid0(SALU_CYCLE_1)
	s_or_b32 exec_lo, exec_lo, s2
	v_mov_b32_e32 v3, 1
	v_cmp_lt_u32_e32 vcc_lo, 1, v0
	s_and_saveexec_b32 s4, vcc_lo
	s_cbranch_execz .LBB0_14
; %bb.11:
	v_sub_nc_u32_e32 v1, 0, v0
	s_mov_b32 s5, 0
	s_mov_b32 s6, 1
	s_mov_b32 s7, -1
.LBB0_12:                               ; =>This Inner Loop Header: Depth=1
	s_wait_alu 0xfffe
	s_add_co_i32 s8, s7, 45
	s_add_co_i32 s7, s7, -1
	s_mul_i32 s6, s6, s8
	s_wait_alu 0xfffe
	v_cmp_eq_u32_e64 s2, s7, v1
	v_mov_b32_e32 v3, s6
	s_or_b32 s5, s2, s5
	s_wait_alu 0xfffe
	s_and_not1_b32 exec_lo, exec_lo, s5
	s_cbranch_execnz .LBB0_12
; %bb.13:
	s_or_b32 exec_lo, exec_lo, s5
.LBB0_14:
	s_wait_alu 0xfffe
	s_or_b32 exec_lo, exec_lo, s4
	v_add_nc_u32_e32 v1, -1, v0
	s_and_saveexec_b32 s2, vcc_lo
	s_cbranch_execz .LBB0_18
; %bb.15:
	s_delay_alu instid0(VALU_DEP_1)
	v_mov_b32_e32 v4, v1
	s_mov_b32 s4, 0
.LBB0_16:                               ; =>This Inner Loop Header: Depth=1
	s_delay_alu instid0(VALU_DEP_1) | instskip(SKIP_1) | instid1(VALU_DEP_2)
	v_sub_nc_u32_e32 v5, 0, v4
	v_sub_nc_u32_e32 v9, 0, v3
	v_max_i32_e32 v5, v4, v5
	s_delay_alu instid0(VALU_DEP_2) | instskip(SKIP_2) | instid1(VALU_DEP_4)
	v_max_i32_e32 v9, v3, v9
	v_xor_b32_e32 v3, v3, v4
	v_add_nc_u32_e32 v4, -1, v4
	v_cvt_f32_u32_e32 v6, v5
	v_sub_nc_u32_e32 v8, 0, v5
	s_delay_alu instid0(VALU_DEP_4) | instskip(NEXT) | instid1(VALU_DEP_3)
	v_ashrrev_i32_e32 v3, 31, v3
	v_rcp_iflag_f32_e32 v6, v6
	s_delay_alu instid0(TRANS32_DEP_1) | instskip(NEXT) | instid1(VALU_DEP_1)
	v_mul_f32_e32 v6, 0x4f7ffffe, v6
	v_cvt_u32_f32_e32 v6, v6
	s_delay_alu instid0(VALU_DEP_1) | instskip(NEXT) | instid1(VALU_DEP_1)
	v_mul_lo_u32 v8, v8, v6
	v_mul_hi_u32 v8, v6, v8
	s_delay_alu instid0(VALU_DEP_1) | instskip(NEXT) | instid1(VALU_DEP_1)
	v_add_nc_u32_e32 v6, v6, v8
	v_mul_hi_u32 v6, v9, v6
	s_delay_alu instid0(VALU_DEP_1) | instskip(SKIP_1) | instid1(VALU_DEP_2)
	v_mul_lo_u32 v8, v6, v5
	v_add_nc_u32_e32 v10, 1, v6
	v_sub_nc_u32_e32 v8, v9, v8
	s_delay_alu instid0(VALU_DEP_1) | instskip(SKIP_3) | instid1(VALU_DEP_1)
	v_sub_nc_u32_e32 v9, v8, v5
	v_cmp_ge_u32_e32 vcc_lo, v8, v5
	s_wait_alu 0xfffd
	v_cndmask_b32_e32 v6, v6, v10, vcc_lo
	v_dual_cndmask_b32 v8, v8, v9 :: v_dual_add_nc_u32 v9, 1, v6
	s_delay_alu instid0(VALU_DEP_1) | instskip(SKIP_1) | instid1(VALU_DEP_2)
	v_cmp_ge_u32_e32 vcc_lo, v8, v5
	s_wait_alu 0xfffd
	v_cndmask_b32_e32 v5, v6, v9, vcc_lo
	v_cmp_eq_u32_e32 vcc_lo, 0, v4
	s_delay_alu instid0(VALU_DEP_2) | instskip(SKIP_2) | instid1(VALU_DEP_1)
	v_xor_b32_e32 v5, v5, v3
	s_wait_alu 0xfffe
	s_or_b32 s4, vcc_lo, s4
	v_sub_nc_u32_e32 v3, v5, v3
	s_wait_alu 0xfffe
	s_and_not1_b32 exec_lo, exec_lo, s4
	s_cbranch_execnz .LBB0_16
; %bb.17:
	s_or_b32 exec_lo, exec_lo, s4
.LBB0_18:
	s_delay_alu instid0(SALU_CYCLE_1) | instskip(SKIP_3) | instid1(VALU_DEP_3)
	s_or_b32 exec_lo, exec_lo, s2
	v_sub_nc_u32_e32 v2, v7, v2
	v_dual_mov_b32 v8, 0 :: v_dual_mov_b32 v5, 0
	v_mov_b32_e32 v6, 0
	v_dual_mov_b32 v4, 0 :: v_dual_add_nc_u32 v9, v3, v2
	v_dual_mov_b32 v3, 0 :: v_dual_mov_b32 v2, 0
	v_mov_b32_e32 v10, 0
	s_mov_b32 s4, exec_lo
	v_cmpx_lt_i32_e32 2, v0
	s_cbranch_execz .LBB0_34
; %bb.19:
	v_dual_mov_b32 v11, 44 :: v_dual_add_nc_u32 v2, -2, v0
	v_dual_mov_b32 v10, 0 :: v_dual_mov_b32 v3, 0
	v_dual_mov_b32 v4, 0 :: v_dual_mov_b32 v5, 0
	v_mov_b32_e32 v6, 0
	v_mov_b32_e32 v8, 0
	;; [unrolled: 1-line block ×3, first 2 shown]
	s_mov_b32 s5, 0
	s_mov_b32 s2, 0
.LBB0_20:                               ; =>This Loop Header: Depth=1
                                        ;     Child Loop BB0_22 Depth 2
                                        ;       Child Loop BB0_23 Depth 3
                                        ;       Child Loop BB0_25 Depth 3
                                        ;     Child Loop BB0_29 Depth 2
                                        ;     Child Loop BB0_31 Depth 2
	v_dual_mov_b32 v14, 0 :: v_dual_add_nc_u32 v1, -1, v1
	v_mov_b32_e32 v13, 0
	s_mov_b32 s6, exec_lo
	v_cmpx_lt_i32_e32 0, v9
	s_cbranch_execz .LBB0_28
; %bb.21:                               ;   in Loop: Header=BB0_20 Depth=1
	v_mov_b32_e32 v13, 0
	s_mov_b32 s8, 1
	s_mov_b32 s7, 0
.LBB0_22:                               ;   Parent Loop BB0_20 Depth=1
                                        ; =>  This Loop Header: Depth=2
                                        ;       Child Loop BB0_23 Depth 3
                                        ;       Child Loop BB0_25 Depth 3
	s_wait_alu 0xfffe
	v_subrev_nc_u32_e32 v15, s8, v11
	v_mov_b32_e32 v14, 1
	v_mov_b32_e32 v16, v12
	s_mov_b32 s9, 0
.LBB0_23:                               ;   Parent Loop BB0_20 Depth=1
                                        ;     Parent Loop BB0_22 Depth=2
                                        ; =>    This Inner Loop Header: Depth=3
	s_delay_alu instid0(VALU_DEP_1) | instskip(NEXT) | instid1(VALU_DEP_3)
	v_add_nc_u32_e32 v16, -1, v16
	v_mul_lo_u32 v14, v14, v15
	v_add_nc_u32_e32 v15, -1, v15
	s_delay_alu instid0(VALU_DEP_3)
	v_cmp_eq_u32_e32 vcc_lo, 0, v16
	s_wait_alu 0xfffe
	s_or_b32 s9, vcc_lo, s9
	s_wait_alu 0xfffe
	s_and_not1_b32 exec_lo, exec_lo, s9
	s_cbranch_execnz .LBB0_23
; %bb.24:                               ;   in Loop: Header=BB0_22 Depth=2
	s_or_b32 exec_lo, exec_lo, s9
	v_mov_b32_e32 v15, v1
	s_mov_b32 s9, 0
.LBB0_25:                               ;   Parent Loop BB0_20 Depth=1
                                        ;     Parent Loop BB0_22 Depth=2
                                        ; =>    This Inner Loop Header: Depth=3
	s_delay_alu instid0(VALU_DEP_1) | instskip(SKIP_1) | instid1(VALU_DEP_2)
	v_sub_nc_u32_e32 v16, 0, v15
	v_sub_nc_u32_e32 v19, 0, v14
	v_max_i32_e32 v16, v15, v16
	s_delay_alu instid0(VALU_DEP_2) | instskip(SKIP_2) | instid1(VALU_DEP_4)
	v_max_i32_e32 v19, v14, v19
	v_xor_b32_e32 v14, v14, v15
	v_add_nc_u32_e32 v15, -1, v15
	v_cvt_f32_u32_e32 v17, v16
	v_sub_nc_u32_e32 v18, 0, v16
	s_delay_alu instid0(VALU_DEP_4) | instskip(NEXT) | instid1(VALU_DEP_3)
	v_ashrrev_i32_e32 v14, 31, v14
	v_rcp_iflag_f32_e32 v17, v17
	s_delay_alu instid0(TRANS32_DEP_1) | instskip(NEXT) | instid1(VALU_DEP_1)
	v_mul_f32_e32 v17, 0x4f7ffffe, v17
	v_cvt_u32_f32_e32 v17, v17
	s_delay_alu instid0(VALU_DEP_1) | instskip(NEXT) | instid1(VALU_DEP_1)
	v_mul_lo_u32 v18, v18, v17
	v_mul_hi_u32 v18, v17, v18
	s_delay_alu instid0(VALU_DEP_1) | instskip(NEXT) | instid1(VALU_DEP_1)
	v_add_nc_u32_e32 v17, v17, v18
	v_mul_hi_u32 v17, v19, v17
	s_delay_alu instid0(VALU_DEP_1) | instskip(SKIP_1) | instid1(VALU_DEP_2)
	v_mul_lo_u32 v18, v17, v16
	v_add_nc_u32_e32 v20, 1, v17
	v_sub_nc_u32_e32 v18, v19, v18
	s_delay_alu instid0(VALU_DEP_1) | instskip(SKIP_2) | instid1(VALU_DEP_2)
	v_sub_nc_u32_e32 v19, v18, v16
	v_cmp_ge_u32_e32 vcc_lo, v18, v16
	s_wait_alu 0xfffd
	v_dual_cndmask_b32 v17, v17, v20 :: v_dual_cndmask_b32 v18, v18, v19
	s_delay_alu instid0(VALU_DEP_1) | instskip(NEXT) | instid1(VALU_DEP_2)
	v_add_nc_u32_e32 v19, 1, v17
	v_cmp_ge_u32_e32 vcc_lo, v18, v16
	s_wait_alu 0xfffd
	s_delay_alu instid0(VALU_DEP_2) | instskip(SKIP_1) | instid1(VALU_DEP_2)
	v_cndmask_b32_e32 v16, v17, v19, vcc_lo
	v_cmp_eq_u32_e32 vcc_lo, 0, v15
	v_xor_b32_e32 v16, v16, v14
	s_wait_alu 0xfffe
	s_or_b32 s9, vcc_lo, s9
	s_delay_alu instid0(VALU_DEP_1)
	v_sub_nc_u32_e32 v14, v16, v14
	s_wait_alu 0xfffe
	s_and_not1_b32 exec_lo, exec_lo, s9
	s_cbranch_execnz .LBB0_25
; %bb.26:                               ;   in Loop: Header=BB0_22 Depth=2
	s_or_b32 exec_lo, exec_lo, s9
	v_dual_mov_b32 v14, s8 :: v_dual_add_nc_u32 v13, v14, v13
	s_add_co_i32 s8, s8, 1
	s_delay_alu instid0(VALU_DEP_1)
	v_cmp_ge_i32_e32 vcc_lo, v13, v9
	s_or_b32 s7, vcc_lo, s7
	s_wait_alu 0xfffe
	s_and_not1_b32 exec_lo, exec_lo, s7
	s_cbranch_execnz .LBB0_22
; %bb.27:                               ;   in Loop: Header=BB0_20 Depth=1
	s_or_b32 exec_lo, exec_lo, s7
.LBB0_28:                               ;   in Loop: Header=BB0_20 Depth=1
	s_wait_alu 0xfffe
	s_or_b32 exec_lo, exec_lo, s6
	v_sub_nc_u32_e32 v11, v11, v14
	v_mov_b32_e32 v15, 1
	s_mov_b32 s6, 0
	s_mov_b32 s7, 0
.LBB0_29:                               ;   Parent Loop BB0_20 Depth=1
                                        ; =>  This Inner Loop Header: Depth=2
	s_wait_alu 0xfffe
	v_add_nc_u32_e32 v16, s7, v11
	s_add_co_i32 s7, s7, -1
	s_wait_alu 0xfffe
	v_add_nc_u32_e32 v17, s7, v12
	s_delay_alu instid0(VALU_DEP_2) | instskip(NEXT) | instid1(VALU_DEP_2)
	v_mul_lo_u32 v15, v15, v16
	v_cmp_eq_u32_e32 vcc_lo, 0, v17
	s_or_b32 s6, vcc_lo, s6
	s_wait_alu 0xfffe
	s_and_not1_b32 exec_lo, exec_lo, s6
	s_cbranch_execnz .LBB0_29
; %bb.30:                               ;   in Loop: Header=BB0_20 Depth=1
	s_or_b32 exec_lo, exec_lo, s6
	v_mov_b32_e32 v16, v1
	s_mov_b32 s6, 0
.LBB0_31:                               ;   Parent Loop BB0_20 Depth=1
                                        ; =>  This Inner Loop Header: Depth=2
	s_delay_alu instid0(VALU_DEP_1) | instskip(SKIP_1) | instid1(VALU_DEP_2)
	v_sub_nc_u32_e32 v17, 0, v16
	v_sub_nc_u32_e32 v20, 0, v15
	v_max_i32_e32 v17, v16, v17
	s_delay_alu instid0(VALU_DEP_2) | instskip(SKIP_2) | instid1(VALU_DEP_4)
	v_max_i32_e32 v20, v15, v20
	v_xor_b32_e32 v15, v15, v16
	v_add_nc_u32_e32 v16, -1, v16
	v_cvt_f32_u32_e32 v18, v17
	v_sub_nc_u32_e32 v19, 0, v17
	s_delay_alu instid0(VALU_DEP_4) | instskip(NEXT) | instid1(VALU_DEP_3)
	v_ashrrev_i32_e32 v15, 31, v15
	v_rcp_iflag_f32_e32 v18, v18
	s_delay_alu instid0(TRANS32_DEP_1) | instskip(NEXT) | instid1(VALU_DEP_1)
	v_mul_f32_e32 v18, 0x4f7ffffe, v18
	v_cvt_u32_f32_e32 v18, v18
	s_delay_alu instid0(VALU_DEP_1) | instskip(NEXT) | instid1(VALU_DEP_1)
	v_mul_lo_u32 v19, v19, v18
	v_mul_hi_u32 v19, v18, v19
	s_delay_alu instid0(VALU_DEP_1) | instskip(NEXT) | instid1(VALU_DEP_1)
	v_add_nc_u32_e32 v18, v18, v19
	v_mul_hi_u32 v18, v20, v18
	s_delay_alu instid0(VALU_DEP_1) | instskip(SKIP_1) | instid1(VALU_DEP_2)
	v_mul_lo_u32 v19, v18, v17
	v_add_nc_u32_e32 v21, 1, v18
	v_sub_nc_u32_e32 v19, v20, v19
	s_delay_alu instid0(VALU_DEP_1) | instskip(SKIP_2) | instid1(VALU_DEP_2)
	v_sub_nc_u32_e32 v20, v19, v17
	v_cmp_ge_u32_e32 vcc_lo, v19, v17
	s_wait_alu 0xfffd
	v_dual_cndmask_b32 v18, v18, v21 :: v_dual_cndmask_b32 v19, v19, v20
	s_delay_alu instid0(VALU_DEP_1) | instskip(NEXT) | instid1(VALU_DEP_2)
	v_add_nc_u32_e32 v20, 1, v18
	v_cmp_ge_u32_e32 vcc_lo, v19, v17
	s_wait_alu 0xfffd
	s_delay_alu instid0(VALU_DEP_2) | instskip(SKIP_1) | instid1(VALU_DEP_2)
	v_cndmask_b32_e32 v17, v18, v20, vcc_lo
	v_cmp_eq_u32_e32 vcc_lo, 0, v16
	v_xor_b32_e32 v17, v17, v15
	s_wait_alu 0xfffe
	s_or_b32 s6, vcc_lo, s6
	s_delay_alu instid0(VALU_DEP_1)
	v_sub_nc_u32_e32 v15, v17, v15
	s_wait_alu 0xfffe
	s_and_not1_b32 exec_lo, exec_lo, s6
	s_cbranch_execnz .LBB0_31
; %bb.32:                               ;   in Loop: Header=BB0_20 Depth=1
	s_or_b32 exec_lo, exec_lo, s6
	v_add_nc_u32_e32 v10, v14, v10
	s_add_co_i32 s6, s2, 1
	s_cmp_eq_u32 s2, 0
	v_sub_nc_u32_e32 v9, v9, v13
	s_cselect_b32 vcc_lo, -1, 0
	s_cmp_eq_u32 s2, 1
	s_wait_alu 0xfffe
	v_dual_cndmask_b32 v3, v3, v10 :: v_dual_add_nc_u32 v12, -1, v12
	s_cselect_b32 vcc_lo, -1, 0
	s_cmp_eq_u32 s2, 2
	s_wait_alu 0xfffe
	v_dual_cndmask_b32 v4, v4, v10 :: v_dual_add_nc_u32 v9, v15, v9
	s_cselect_b32 vcc_lo, -1, 0
	s_cmp_eq_u32 s2, 3
	s_wait_alu 0xfffe
	v_cndmask_b32_e32 v5, v5, v10, vcc_lo
	s_cselect_b32 vcc_lo, -1, 0
	s_cmp_eq_u32 s2, 4
	s_wait_alu 0xfffe
	v_cndmask_b32_e32 v6, v6, v10, vcc_lo
	v_cmp_eq_u32_e32 vcc_lo, s6, v2
	s_cselect_b32 s2, -1, 0
	s_wait_alu 0xfffe
	v_cndmask_b32_e64 v8, v8, v10, s2
	s_mov_b32 s2, s6
	s_or_b32 s5, vcc_lo, s5
	s_wait_alu 0xfffe
	s_and_not1_b32 exec_lo, exec_lo, s5
	s_cbranch_execnz .LBB0_20
; %bb.33:
	s_or_b32 exec_lo, exec_lo, s5
.LBB0_34:
	s_wait_alu 0xfffe
	s_or_b32 exec_lo, exec_lo, s4
	v_add_nc_u32_e32 v1, v10, v9
	v_cmp_eq_u32_e32 vcc_lo, 4, v2
	s_mov_b32 s5, 0
	s_mov_b32 s4, exec_lo
	s_wait_alu 0xfffd
	v_cndmask_b32_e32 v12, v8, v1, vcc_lo
	v_cmp_eq_u32_e32 vcc_lo, 3, v2
	s_wait_alu 0xfffd
	v_cndmask_b32_e32 v13, v6, v1, vcc_lo
	v_cmp_eq_u32_e32 vcc_lo, 2, v2
	;; [unrolled: 3-line block ×4, first 2 shown]
	s_wait_alu 0xfffd
	v_cndmask_b32_e32 v16, v3, v1, vcc_lo
	v_cmpx_gt_u32_e32 3, v2
	s_cbranch_execz .LBB0_38
; %bb.35:
	v_max_i32_e32 v1, 2, v0
	v_mov_b32_e32 v2, 0
	s_delay_alu instid0(VALU_DEP_2)
	v_add_nc_u32_e32 v0, -3, v1
	v_add_nc_u32_e32 v1, -1, v1
.LBB0_36:                               ; =>This Inner Loop Header: Depth=1
	s_delay_alu instid0(VALU_DEP_1) | instskip(NEXT) | instid1(VALU_DEP_3)
	v_cmp_ne_u32_e32 vcc_lo, 4, v1
	v_add_nc_u32_e32 v0, 1, v0
	s_wait_alu 0xfffd
	v_cndmask_b32_e32 v12, -1, v12, vcc_lo
	v_cmp_ne_u32_e32 vcc_lo, 3, v1
	s_wait_alu 0xfffd
	v_cndmask_b32_e32 v13, -1, v13, vcc_lo
	v_cmp_ne_u32_e32 vcc_lo, 2, v1
	;; [unrolled: 3-line block ×4, first 2 shown]
	v_add_co_u32 v1, s2, v1, 1
	s_wait_alu 0xf1ff
	v_add_co_ci_u32_e64 v2, null, 0, v2, s2
	s_wait_alu 0xfffd
	v_cndmask_b32_e32 v16, -1, v16, vcc_lo
	v_cmp_lt_u32_e32 vcc_lo, 1, v0
	s_wait_alu 0xfffe
	s_or_b32 s5, vcc_lo, s5
	s_wait_alu 0xfffe
	s_and_not1_b32 exec_lo, exec_lo, s5
	s_cbranch_execnz .LBB0_36
; %bb.37:
	s_or_b32 exec_lo, exec_lo, s5
.LBB0_38:
	s_wait_alu 0xfffe
	s_or_b32 exec_lo, exec_lo, s4
.LBB0_39:
	s_delay_alu instid0(SALU_CYCLE_1)
	s_or_b32 exec_lo, exec_lo, s3
	v_cmp_lt_i32_e32 vcc_lo, 0, v14
	v_cmp_lt_i32_e64 s2, 0, v16
	s_clause 0x1
	s_load_b128 s[8:11], s[0:1], 0x8
	s_load_b64 s[6:7], s[0:1], 0x18
	v_dual_mov_b32 v20, 3 :: v_dual_mov_b32 v21, 4
	v_cndmask_b32_e64 v0, 0, 1, vcc_lo
	v_cmp_lt_i32_e32 vcc_lo, 0, v15
	v_cndmask_b32_e64 v1, 0, 1, s2
	v_dual_mov_b32 v22, 5 :: v_dual_mov_b32 v23, 6
	v_mov_b32_e32 v19, 1
	s_wait_alu 0xfffd
	v_add_co_ci_u32_e64 v2, null, 0, v0, vcc_lo
	v_cmp_lt_i32_e32 vcc_lo, 0, v13
	v_mov_b32_e32 v0, 0
	v_dual_mov_b32 v24, 7 :: v_dual_mov_b32 v25, 8
	v_dual_mov_b32 v26, 9 :: v_dual_mov_b32 v27, 10
	s_wait_alu 0xfffd
	v_cndmask_b32_e64 v3, 0, 1, vcc_lo
	v_mov_b32_e32 v4, v0
	v_add_co_ci_u32_e64 v17, null, v2, v1, vcc_lo
	v_mov_b32_e32 v1, v0
	s_delay_alu instid0(VALU_DEP_4)
	v_add_co_ci_u32_e64 v18, null, v2, v3, s2
	v_dual_mov_b32 v3, v0 :: v_dual_mov_b32 v2, v0
	v_mov_b32_e32 v6, v4
	v_dual_mov_b32 v28, 11 :: v_dual_mov_b32 v29, 12
	v_dual_mov_b32 v30, 13 :: v_dual_mov_b32 v31, 14
	;; [unrolled: 1-line block ×18, first 2 shown]
	v_mov_b32_e32 v4, v2
	v_mov_b32_e32 v3, v1
	;; [unrolled: 1-line block ×3, first 2 shown]
	s_or_b32 s17, 0, 8
	s_or_b32 s18, 0, 4
	s_mov_b32 s5, 0
	s_mov_b32 s19, 0
	v_cmp_ne_u32_e32 vcc_lo, 0, v17
	s_branch .LBB0_41
.LBB0_40:                               ;   in Loop: Header=BB0_41 Depth=1
	s_or_b32 exec_lo, exec_lo, s20
	s_add_co_i32 s19, s19, 1
	s_wait_alu 0xfffe
	s_cmp_lg_u32 s19, 45
	s_cbranch_scc0 .LBB0_193
.LBB0_41:                               ; =>This Loop Header: Depth=1
                                        ;     Child Loop BB0_133 Depth 2
                                        ;     Child Loop BB0_138 Depth 2
                                        ;       Child Loop BB0_140 Depth 3
                                        ;       Child Loop BB0_154 Depth 3
	;; [unrolled: 1-line block ×3, first 2 shown]
                                        ;         Child Loop BB0_177 Depth 4
                                        ;         Child Loop BB0_183 Depth 4
                                        ;         Child Loop BB0_189 Depth 4
	s_cmp_eq_u32 s19, 0
	s_mov_b32 s1, s18
	s_mov_b32 s0, 1
	s_cbranch_scc1 .LBB0_43
; %bb.42:                               ;   in Loop: Header=BB0_41 Depth=1
	s_mov_b32 s0, 2
	s_wait_alu 0xfffe
	s_mov_b32 s1, s17
	scratch_store_b32 off, v0, off offset:4
.LBB0_43:                               ;   in Loop: Header=BB0_41 Depth=1
	s_cmp_eq_u32 s19, 1
	s_cbranch_scc0 .LBB0_88
; %bb.44:                               ;   in Loop: Header=BB0_41 Depth=1
	s_cmp_eq_u32 s19, 2
	s_cbranch_scc0 .LBB0_89
.LBB0_45:                               ;   in Loop: Header=BB0_41 Depth=1
	s_cmp_eq_u32 s19, 3
	s_cbranch_scc0 .LBB0_90
.LBB0_46:                               ;   in Loop: Header=BB0_41 Depth=1
	s_cmp_eq_u32 s19, 4
	s_cbranch_scc0 .LBB0_91
.LBB0_47:                               ;   in Loop: Header=BB0_41 Depth=1
	s_cmp_eq_u32 s19, 5
	s_cbranch_scc0 .LBB0_92
.LBB0_48:                               ;   in Loop: Header=BB0_41 Depth=1
	s_cmp_eq_u32 s19, 6
	s_cbranch_scc0 .LBB0_93
.LBB0_49:                               ;   in Loop: Header=BB0_41 Depth=1
	s_cmp_eq_u32 s19, 7
	s_cbranch_scc0 .LBB0_94
.LBB0_50:                               ;   in Loop: Header=BB0_41 Depth=1
	s_cmp_eq_u32 s19, 8
	s_cbranch_scc0 .LBB0_95
.LBB0_51:                               ;   in Loop: Header=BB0_41 Depth=1
	s_cmp_eq_u32 s19, 9
	s_cbranch_scc0 .LBB0_96
.LBB0_52:                               ;   in Loop: Header=BB0_41 Depth=1
	s_cmp_eq_u32 s19, 10
	s_cbranch_scc0 .LBB0_97
.LBB0_53:                               ;   in Loop: Header=BB0_41 Depth=1
	s_cmp_eq_u32 s19, 11
	s_cbranch_scc0 .LBB0_98
.LBB0_54:                               ;   in Loop: Header=BB0_41 Depth=1
	s_cmp_eq_u32 s19, 12
	s_cbranch_scc0 .LBB0_99
.LBB0_55:                               ;   in Loop: Header=BB0_41 Depth=1
	s_cmp_eq_u32 s19, 13
	s_cbranch_scc0 .LBB0_100
.LBB0_56:                               ;   in Loop: Header=BB0_41 Depth=1
	s_cmp_eq_u32 s19, 14
	s_cbranch_scc0 .LBB0_101
.LBB0_57:                               ;   in Loop: Header=BB0_41 Depth=1
	s_cmp_eq_u32 s19, 15
	s_cbranch_scc0 .LBB0_102
.LBB0_58:                               ;   in Loop: Header=BB0_41 Depth=1
	s_cmp_eq_u32 s19, 16
	s_cbranch_scc0 .LBB0_103
.LBB0_59:                               ;   in Loop: Header=BB0_41 Depth=1
	s_cmp_eq_u32 s19, 17
	s_cbranch_scc0 .LBB0_104
.LBB0_60:                               ;   in Loop: Header=BB0_41 Depth=1
	s_cmp_eq_u32 s19, 18
	s_cbranch_scc0 .LBB0_105
.LBB0_61:                               ;   in Loop: Header=BB0_41 Depth=1
	s_cmp_eq_u32 s19, 19
	s_cbranch_scc0 .LBB0_106
.LBB0_62:                               ;   in Loop: Header=BB0_41 Depth=1
	s_cmp_eq_u32 s19, 20
	s_cbranch_scc0 .LBB0_107
.LBB0_63:                               ;   in Loop: Header=BB0_41 Depth=1
	s_cmp_eq_u32 s19, 21
	s_cbranch_scc0 .LBB0_108
.LBB0_64:                               ;   in Loop: Header=BB0_41 Depth=1
	s_cmp_eq_u32 s19, 22
	s_cbranch_scc0 .LBB0_109
.LBB0_65:                               ;   in Loop: Header=BB0_41 Depth=1
	s_cmp_eq_u32 s19, 23
	s_cbranch_scc0 .LBB0_110
.LBB0_66:                               ;   in Loop: Header=BB0_41 Depth=1
	s_cmp_eq_u32 s19, 24
	s_cbranch_scc0 .LBB0_111
.LBB0_67:                               ;   in Loop: Header=BB0_41 Depth=1
	s_cmp_eq_u32 s19, 25
	s_cbranch_scc0 .LBB0_112
.LBB0_68:                               ;   in Loop: Header=BB0_41 Depth=1
	s_cmp_eq_u32 s19, 26
	s_cbranch_scc0 .LBB0_113
.LBB0_69:                               ;   in Loop: Header=BB0_41 Depth=1
	s_cmp_eq_u32 s19, 27
	s_cbranch_scc0 .LBB0_114
.LBB0_70:                               ;   in Loop: Header=BB0_41 Depth=1
	s_cmp_eq_u32 s19, 28
	s_cbranch_scc0 .LBB0_115
.LBB0_71:                               ;   in Loop: Header=BB0_41 Depth=1
	s_cmp_eq_u32 s19, 29
	s_cbranch_scc0 .LBB0_116
.LBB0_72:                               ;   in Loop: Header=BB0_41 Depth=1
	s_cmp_eq_u32 s19, 30
	s_cbranch_scc0 .LBB0_117
.LBB0_73:                               ;   in Loop: Header=BB0_41 Depth=1
	s_cmp_eq_u32 s19, 31
	s_cbranch_scc0 .LBB0_118
.LBB0_74:                               ;   in Loop: Header=BB0_41 Depth=1
	s_cmp_eq_u32 s19, 32
	s_cbranch_scc0 .LBB0_119
.LBB0_75:                               ;   in Loop: Header=BB0_41 Depth=1
	s_cmp_eq_u32 s19, 33
	s_cbranch_scc0 .LBB0_120
.LBB0_76:                               ;   in Loop: Header=BB0_41 Depth=1
	s_cmp_eq_u32 s19, 34
	s_cbranch_scc0 .LBB0_121
.LBB0_77:                               ;   in Loop: Header=BB0_41 Depth=1
	s_cmp_eq_u32 s19, 35
	s_cbranch_scc0 .LBB0_122
.LBB0_78:                               ;   in Loop: Header=BB0_41 Depth=1
	s_cmp_eq_u32 s19, 36
	s_cbranch_scc0 .LBB0_123
.LBB0_79:                               ;   in Loop: Header=BB0_41 Depth=1
	s_cmp_eq_u32 s19, 37
	s_cbranch_scc0 .LBB0_124
.LBB0_80:                               ;   in Loop: Header=BB0_41 Depth=1
	s_cmp_eq_u32 s19, 38
	s_cbranch_scc0 .LBB0_125
.LBB0_81:                               ;   in Loop: Header=BB0_41 Depth=1
	s_cmp_eq_u32 s19, 39
	s_cbranch_scc0 .LBB0_126
.LBB0_82:                               ;   in Loop: Header=BB0_41 Depth=1
	s_cmp_eq_u32 s19, 40
	s_cbranch_scc0 .LBB0_127
.LBB0_83:                               ;   in Loop: Header=BB0_41 Depth=1
	s_cmp_eq_u32 s19, 41
	s_cbranch_scc0 .LBB0_128
.LBB0_84:                               ;   in Loop: Header=BB0_41 Depth=1
	s_cmp_eq_u32 s19, 42
	s_cbranch_scc0 .LBB0_129
.LBB0_85:                               ;   in Loop: Header=BB0_41 Depth=1
	s_cmp_eq_u32 s19, 43
	s_cbranch_scc0 .LBB0_130
.LBB0_86:                               ;   in Loop: Header=BB0_41 Depth=1
	s_cmp_eq_u32 s19, 44
	s_cbranch_scc0 .LBB0_131
.LBB0_87:                               ;   in Loop: Header=BB0_41 Depth=1
	s_and_saveexec_b32 s4, vcc_lo
	s_cbranch_execnz .LBB0_132
	s_branch .LBB0_135
.LBB0_88:                               ;   in Loop: Header=BB0_41 Depth=1
	s_wait_alu 0xfffe
	s_add_co_i32 s0, s0, 1
	scratch_store_b32 off, v19, s1
	s_cmp_eq_u32 s19, 2
	s_cbranch_scc1 .LBB0_45
.LBB0_89:                               ;   in Loop: Header=BB0_41 Depth=1
	s_wait_alu 0xfffe
	s_lshl_b32 s1, s0, 2
	s_add_co_i32 s0, s0, 1
	scratch_store_b32 off, v62, s1
	s_cmp_eq_u32 s19, 3
	s_cbranch_scc1 .LBB0_46
.LBB0_90:                               ;   in Loop: Header=BB0_41 Depth=1
	s_wait_alu 0xfffe
	s_lshl_b32 s1, s0, 2
	s_add_co_i32 s0, s0, 1
	scratch_store_b32 off, v20, s1
	s_cmp_eq_u32 s19, 4
	s_cbranch_scc1 .LBB0_47
.LBB0_91:                               ;   in Loop: Header=BB0_41 Depth=1
	s_wait_alu 0xfffe
	s_lshl_b32 s1, s0, 2
	s_add_co_i32 s0, s0, 1
	scratch_store_b32 off, v21, s1
	s_cmp_eq_u32 s19, 5
	s_cbranch_scc1 .LBB0_48
.LBB0_92:                               ;   in Loop: Header=BB0_41 Depth=1
	s_wait_alu 0xfffe
	s_lshl_b32 s1, s0, 2
	s_add_co_i32 s0, s0, 1
	scratch_store_b32 off, v22, s1
	s_cmp_eq_u32 s19, 6
	s_cbranch_scc1 .LBB0_49
.LBB0_93:                               ;   in Loop: Header=BB0_41 Depth=1
	s_wait_alu 0xfffe
	s_lshl_b32 s1, s0, 2
	s_add_co_i32 s0, s0, 1
	scratch_store_b32 off, v23, s1
	s_cmp_eq_u32 s19, 7
	s_cbranch_scc1 .LBB0_50
.LBB0_94:                               ;   in Loop: Header=BB0_41 Depth=1
	s_wait_alu 0xfffe
	s_lshl_b32 s1, s0, 2
	s_add_co_i32 s0, s0, 1
	scratch_store_b32 off, v24, s1
	s_cmp_eq_u32 s19, 8
	s_cbranch_scc1 .LBB0_51
.LBB0_95:                               ;   in Loop: Header=BB0_41 Depth=1
	s_wait_alu 0xfffe
	s_lshl_b32 s1, s0, 2
	s_add_co_i32 s0, s0, 1
	scratch_store_b32 off, v25, s1
	s_cmp_eq_u32 s19, 9
	s_cbranch_scc1 .LBB0_52
.LBB0_96:                               ;   in Loop: Header=BB0_41 Depth=1
	s_wait_alu 0xfffe
	s_lshl_b32 s1, s0, 2
	s_add_co_i32 s0, s0, 1
	scratch_store_b32 off, v26, s1
	s_cmp_eq_u32 s19, 10
	s_cbranch_scc1 .LBB0_53
.LBB0_97:                               ;   in Loop: Header=BB0_41 Depth=1
	s_wait_alu 0xfffe
	s_lshl_b32 s1, s0, 2
	s_add_co_i32 s0, s0, 1
	scratch_store_b32 off, v27, s1
	s_cmp_eq_u32 s19, 11
	s_cbranch_scc1 .LBB0_54
.LBB0_98:                               ;   in Loop: Header=BB0_41 Depth=1
	s_wait_alu 0xfffe
	s_lshl_b32 s1, s0, 2
	s_add_co_i32 s0, s0, 1
	scratch_store_b32 off, v28, s1
	s_cmp_eq_u32 s19, 12
	s_cbranch_scc1 .LBB0_55
.LBB0_99:                               ;   in Loop: Header=BB0_41 Depth=1
	s_wait_alu 0xfffe
	s_lshl_b32 s1, s0, 2
	s_add_co_i32 s0, s0, 1
	scratch_store_b32 off, v29, s1
	s_cmp_eq_u32 s19, 13
	s_cbranch_scc1 .LBB0_56
.LBB0_100:                              ;   in Loop: Header=BB0_41 Depth=1
	s_wait_alu 0xfffe
	s_lshl_b32 s1, s0, 2
	s_add_co_i32 s0, s0, 1
	scratch_store_b32 off, v30, s1
	s_cmp_eq_u32 s19, 14
	s_cbranch_scc1 .LBB0_57
.LBB0_101:                              ;   in Loop: Header=BB0_41 Depth=1
	s_wait_alu 0xfffe
	s_lshl_b32 s1, s0, 2
	s_add_co_i32 s0, s0, 1
	scratch_store_b32 off, v31, s1
	s_cmp_eq_u32 s19, 15
	s_cbranch_scc1 .LBB0_58
.LBB0_102:                              ;   in Loop: Header=BB0_41 Depth=1
	s_wait_alu 0xfffe
	s_lshl_b32 s1, s0, 2
	s_add_co_i32 s0, s0, 1
	scratch_store_b32 off, v32, s1
	s_cmp_eq_u32 s19, 16
	s_cbranch_scc1 .LBB0_59
.LBB0_103:                              ;   in Loop: Header=BB0_41 Depth=1
	s_wait_alu 0xfffe
	s_lshl_b32 s1, s0, 2
	s_add_co_i32 s0, s0, 1
	scratch_store_b32 off, v33, s1
	s_cmp_eq_u32 s19, 17
	s_cbranch_scc1 .LBB0_60
.LBB0_104:                              ;   in Loop: Header=BB0_41 Depth=1
	s_wait_alu 0xfffe
	s_lshl_b32 s1, s0, 2
	s_add_co_i32 s0, s0, 1
	scratch_store_b32 off, v34, s1
	s_cmp_eq_u32 s19, 18
	s_cbranch_scc1 .LBB0_61
.LBB0_105:                              ;   in Loop: Header=BB0_41 Depth=1
	s_wait_alu 0xfffe
	s_lshl_b32 s1, s0, 2
	s_add_co_i32 s0, s0, 1
	scratch_store_b32 off, v35, s1
	s_cmp_eq_u32 s19, 19
	s_cbranch_scc1 .LBB0_62
.LBB0_106:                              ;   in Loop: Header=BB0_41 Depth=1
	s_wait_alu 0xfffe
	s_lshl_b32 s1, s0, 2
	s_add_co_i32 s0, s0, 1
	scratch_store_b32 off, v36, s1
	s_cmp_eq_u32 s19, 20
	s_cbranch_scc1 .LBB0_63
.LBB0_107:                              ;   in Loop: Header=BB0_41 Depth=1
	s_wait_alu 0xfffe
	s_lshl_b32 s1, s0, 2
	s_add_co_i32 s0, s0, 1
	scratch_store_b32 off, v37, s1
	s_cmp_eq_u32 s19, 21
	s_cbranch_scc1 .LBB0_64
.LBB0_108:                              ;   in Loop: Header=BB0_41 Depth=1
	s_wait_alu 0xfffe
	s_lshl_b32 s1, s0, 2
	s_add_co_i32 s0, s0, 1
	scratch_store_b32 off, v38, s1
	s_cmp_eq_u32 s19, 22
	s_cbranch_scc1 .LBB0_65
.LBB0_109:                              ;   in Loop: Header=BB0_41 Depth=1
	s_wait_alu 0xfffe
	s_lshl_b32 s1, s0, 2
	s_add_co_i32 s0, s0, 1
	scratch_store_b32 off, v39, s1
	s_cmp_eq_u32 s19, 23
	s_cbranch_scc1 .LBB0_66
.LBB0_110:                              ;   in Loop: Header=BB0_41 Depth=1
	s_wait_alu 0xfffe
	s_lshl_b32 s1, s0, 2
	s_add_co_i32 s0, s0, 1
	scratch_store_b32 off, v40, s1
	s_cmp_eq_u32 s19, 24
	s_cbranch_scc1 .LBB0_67
.LBB0_111:                              ;   in Loop: Header=BB0_41 Depth=1
	s_wait_alu 0xfffe
	s_lshl_b32 s1, s0, 2
	s_add_co_i32 s0, s0, 1
	scratch_store_b32 off, v41, s1
	s_cmp_eq_u32 s19, 25
	s_cbranch_scc1 .LBB0_68
.LBB0_112:                              ;   in Loop: Header=BB0_41 Depth=1
	s_wait_alu 0xfffe
	s_lshl_b32 s1, s0, 2
	s_add_co_i32 s0, s0, 1
	scratch_store_b32 off, v42, s1
	s_cmp_eq_u32 s19, 26
	s_cbranch_scc1 .LBB0_69
.LBB0_113:                              ;   in Loop: Header=BB0_41 Depth=1
	s_wait_alu 0xfffe
	s_lshl_b32 s1, s0, 2
	s_add_co_i32 s0, s0, 1
	scratch_store_b32 off, v43, s1
	s_cmp_eq_u32 s19, 27
	s_cbranch_scc1 .LBB0_70
.LBB0_114:                              ;   in Loop: Header=BB0_41 Depth=1
	s_wait_alu 0xfffe
	s_lshl_b32 s1, s0, 2
	s_add_co_i32 s0, s0, 1
	scratch_store_b32 off, v44, s1
	s_cmp_eq_u32 s19, 28
	s_cbranch_scc1 .LBB0_71
.LBB0_115:                              ;   in Loop: Header=BB0_41 Depth=1
	s_wait_alu 0xfffe
	s_lshl_b32 s1, s0, 2
	s_add_co_i32 s0, s0, 1
	scratch_store_b32 off, v45, s1
	s_cmp_eq_u32 s19, 29
	s_cbranch_scc1 .LBB0_72
.LBB0_116:                              ;   in Loop: Header=BB0_41 Depth=1
	s_wait_alu 0xfffe
	s_lshl_b32 s1, s0, 2
	s_add_co_i32 s0, s0, 1
	scratch_store_b32 off, v46, s1
	s_cmp_eq_u32 s19, 30
	s_cbranch_scc1 .LBB0_73
.LBB0_117:                              ;   in Loop: Header=BB0_41 Depth=1
	s_wait_alu 0xfffe
	s_lshl_b32 s1, s0, 2
	s_add_co_i32 s0, s0, 1
	scratch_store_b32 off, v47, s1
	s_cmp_eq_u32 s19, 31
	s_cbranch_scc1 .LBB0_74
.LBB0_118:                              ;   in Loop: Header=BB0_41 Depth=1
	s_wait_alu 0xfffe
	s_lshl_b32 s1, s0, 2
	s_add_co_i32 s0, s0, 1
	scratch_store_b32 off, v48, s1
	s_cmp_eq_u32 s19, 32
	s_cbranch_scc1 .LBB0_75
.LBB0_119:                              ;   in Loop: Header=BB0_41 Depth=1
	s_wait_alu 0xfffe
	s_lshl_b32 s1, s0, 2
	s_add_co_i32 s0, s0, 1
	scratch_store_b32 off, v49, s1
	s_cmp_eq_u32 s19, 33
	s_cbranch_scc1 .LBB0_76
.LBB0_120:                              ;   in Loop: Header=BB0_41 Depth=1
	s_wait_alu 0xfffe
	s_lshl_b32 s1, s0, 2
	s_add_co_i32 s0, s0, 1
	scratch_store_b32 off, v50, s1
	s_cmp_eq_u32 s19, 34
	s_cbranch_scc1 .LBB0_77
.LBB0_121:                              ;   in Loop: Header=BB0_41 Depth=1
	s_wait_alu 0xfffe
	s_lshl_b32 s1, s0, 2
	s_add_co_i32 s0, s0, 1
	scratch_store_b32 off, v51, s1
	s_cmp_eq_u32 s19, 35
	s_cbranch_scc1 .LBB0_78
.LBB0_122:                              ;   in Loop: Header=BB0_41 Depth=1
	s_wait_alu 0xfffe
	s_lshl_b32 s1, s0, 2
	s_add_co_i32 s0, s0, 1
	scratch_store_b32 off, v52, s1
	s_cmp_eq_u32 s19, 36
	s_cbranch_scc1 .LBB0_79
.LBB0_123:                              ;   in Loop: Header=BB0_41 Depth=1
	s_wait_alu 0xfffe
	s_lshl_b32 s1, s0, 2
	s_add_co_i32 s0, s0, 1
	scratch_store_b32 off, v53, s1
	s_cmp_eq_u32 s19, 37
	s_cbranch_scc1 .LBB0_80
.LBB0_124:                              ;   in Loop: Header=BB0_41 Depth=1
	s_wait_alu 0xfffe
	s_lshl_b32 s1, s0, 2
	s_add_co_i32 s0, s0, 1
	scratch_store_b32 off, v54, s1
	s_cmp_eq_u32 s19, 38
	s_cbranch_scc1 .LBB0_81
.LBB0_125:                              ;   in Loop: Header=BB0_41 Depth=1
	s_wait_alu 0xfffe
	s_lshl_b32 s1, s0, 2
	s_add_co_i32 s0, s0, 1
	scratch_store_b32 off, v55, s1
	s_cmp_eq_u32 s19, 39
	s_cbranch_scc1 .LBB0_82
.LBB0_126:                              ;   in Loop: Header=BB0_41 Depth=1
	s_wait_alu 0xfffe
	s_lshl_b32 s1, s0, 2
	s_add_co_i32 s0, s0, 1
	scratch_store_b32 off, v56, s1
	s_cmp_eq_u32 s19, 40
	s_cbranch_scc1 .LBB0_83
.LBB0_127:                              ;   in Loop: Header=BB0_41 Depth=1
	s_wait_alu 0xfffe
	s_lshl_b32 s1, s0, 2
	s_add_co_i32 s0, s0, 1
	scratch_store_b32 off, v57, s1
	s_cmp_eq_u32 s19, 41
	s_cbranch_scc1 .LBB0_84
.LBB0_128:                              ;   in Loop: Header=BB0_41 Depth=1
	s_wait_alu 0xfffe
	s_lshl_b32 s1, s0, 2
	s_add_co_i32 s0, s0, 1
	scratch_store_b32 off, v58, s1
	s_cmp_eq_u32 s19, 42
	s_cbranch_scc1 .LBB0_85
.LBB0_129:                              ;   in Loop: Header=BB0_41 Depth=1
	s_wait_alu 0xfffe
	s_lshl_b32 s1, s0, 2
	s_add_co_i32 s0, s0, 1
	scratch_store_b32 off, v59, s1
	s_cmp_eq_u32 s19, 43
	s_cbranch_scc1 .LBB0_86
.LBB0_130:                              ;   in Loop: Header=BB0_41 Depth=1
	s_wait_alu 0xfffe
	s_lshl_b32 s1, s0, 2
	s_add_co_i32 s0, s0, 1
	scratch_store_b32 off, v60, s1
	s_cmp_eq_u32 s19, 44
	s_cbranch_scc1 .LBB0_87
.LBB0_131:                              ;   in Loop: Header=BB0_41 Depth=1
	s_wait_alu 0xfffe
	s_lshl_b32 s0, s0, 2
	scratch_store_b32 off, v61, s0
	s_and_saveexec_b32 s4, vcc_lo
	s_cbranch_execz .LBB0_135
.LBB0_132:                              ;   in Loop: Header=BB0_41 Depth=1
	s_mov_b64 s[2:3], 0
	s_mov_b32 s12, 0
.LBB0_133:                              ;   Parent Loop BB0_41 Depth=1
                                        ; =>  This Inner Loop Header: Depth=2
	s_wait_alu 0xfffe
	s_cmp_lg_u32 s2, 4
	s_cselect_b32 s0, -1, 0
	s_cmp_lg_u32 s2, 3
	s_wait_alu 0xfffe
	v_cndmask_b32_e64 v6, 0, v6, s0
	s_cselect_b32 s0, -1, 0
	s_cmp_lg_u32 s2, 2
	s_wait_alu 0xfffe
	v_cndmask_b32_e64 v5, 0, v5, s0
	s_cselect_b32 s0, -1, 0
	s_cmp_lg_u32 s2, 1
	s_wait_alu 0xfffe
	v_cndmask_b32_e64 v4, 0, v4, s0
	s_cselect_b32 s1, -1, 0
	s_cmp_lg_u32 s2, 0
	s_add_nc_u64 s[2:3], s[2:3], 1
	s_wait_alu 0xfffe
	v_cndmask_b32_e64 v3, 0, v3, s1
	v_cmp_eq_u32_e64 s0, s2, v18
	s_cselect_b32 s1, -1, 0
	s_wait_alu 0xfffe
	v_cndmask_b32_e64 v2, 0, v2, s1
	s_or_b32 s12, s0, s12
	s_wait_alu 0xfffe
	s_and_not1_b32 exec_lo, exec_lo, s12
	s_cbranch_execnz .LBB0_133
; %bb.134:                              ;   in Loop: Header=BB0_41 Depth=1
	s_or_b32 exec_lo, exec_lo, s12
.LBB0_135:                              ;   in Loop: Header=BB0_41 Depth=1
	s_wait_alu 0xfffe
	s_or_b32 exec_lo, exec_lo, s4
	v_mad_co_u64_u32 v[8:9], null, s19, s16, v[7:8]
	s_mov_b32 s20, 0
	s_mov_b32 s21, 0
	v_ashrrev_i32_e32 v9, 31, v8
	s_delay_alu instid0(VALU_DEP_1) | instskip(SKIP_1) | instid1(VALU_DEP_1)
	v_lshlrev_b64_e32 v[8:9], 2, v[8:9]
	s_wait_kmcnt 0x0
	v_add_co_u32 v8, s0, s8, v8
	s_wait_alu 0xf1ff
	s_delay_alu instid0(VALU_DEP_2)
	v_add_co_ci_u32_e64 v9, null, s9, v9, s0
	s_branch .LBB0_138
.LBB0_136:                              ;   in Loop: Header=BB0_138 Depth=2
	v_ashrrev_i32_e32 v64, 31, v10
	v_mov_b32_e32 v63, v10
	v_ashrrev_i32_e32 v66, 31, v11
	v_mov_b32_e32 v65, v11
	s_add_co_i32 s21, s21, 1
	s_xor_b32 s1, exec_lo, -1
	v_lshlrev_b64_e32 v[10:11], 2, v[63:64]
	s_delay_alu instid0(VALU_DEP_2) | instskip(NEXT) | instid1(VALU_DEP_2)
	v_lshlrev_b64_e32 v[63:64], 2, v[65:66]
	v_add_co_u32 v65, s0, s6, v10
	s_wait_alu 0xf1ff
	s_delay_alu instid0(VALU_DEP_3) | instskip(NEXT) | instid1(VALU_DEP_3)
	v_add_co_ci_u32_e64 v66, null, s7, v11, s0
	v_add_co_u32 v63, s0, s6, v63
	s_wait_alu 0xf1ff
	v_add_co_ci_u32_e64 v64, null, s7, v64, s0
	global_load_b32 v1, v[65:66], off
	v_add_co_u32 v10, s0, v63, v10
	s_wait_alu 0xf1ff
	v_add_co_ci_u32_e64 v11, null, v64, v11, s0
	s_clause 0x2
	global_load_b32 v63, v[63:64], off
	global_load_b32 v10, v[10:11], off offset:4
	global_load_b32 v11, v0, s[6:7] offset:4
	global_load_b32 v64, v[8:9], off
	s_wait_loadcnt 0x4
	v_add_f32_e32 v1, 0, v1
	s_wait_loadcnt 0x3
	s_delay_alu instid0(VALU_DEP_1) | instskip(SKIP_1) | instid1(VALU_DEP_1)
	v_add_f32_e32 v1, v1, v63
	s_wait_loadcnt 0x2
	v_sub_f32_e32 v1, v1, v10
	s_wait_loadcnt 0x1
	s_delay_alu instid0(VALU_DEP_1) | instskip(SKIP_1) | instid1(VALU_DEP_1)
	v_add_f32_e32 v1, v1, v11
	s_wait_loadcnt 0x0
	v_add_f32_e32 v1, v64, v1
	global_store_b32 v[8:9], v1, off
.LBB0_137:                              ;   in Loop: Header=BB0_138 Depth=2
	s_or_b32 exec_lo, exec_lo, s14
	s_wait_alu 0xfffe
	s_and_b32 s0, exec_lo, s1
	s_wait_alu 0xfffe
	s_or_b32 s20, s0, s20
	s_wait_alu 0xfffe
	s_and_not1_b32 exec_lo, exec_lo, s20
	s_cbranch_execz .LBB0_40
.LBB0_138:                              ;   Parent Loop BB0_41 Depth=1
                                        ; =>  This Loop Header: Depth=2
                                        ;       Child Loop BB0_140 Depth 3
                                        ;       Child Loop BB0_154 Depth 3
	;; [unrolled: 1-line block ×3, first 2 shown]
                                        ;         Child Loop BB0_177 Depth 4
                                        ;         Child Loop BB0_183 Depth 4
	;; [unrolled: 1-line block ×3, first 2 shown]
	v_mov_b32_e32 v1, 1
	s_and_saveexec_b32 s1, vcc_lo
	s_cbranch_execz .LBB0_142
; %bb.139:                              ;   in Loop: Header=BB0_138 Depth=2
	v_mov_b32_e32 v10, v17
	s_mov_b32 s3, 1
	s_mov_b32 s2, 0
.LBB0_140:                              ;   Parent Loop BB0_41 Depth=1
                                        ;     Parent Loop BB0_138 Depth=2
                                        ; =>    This Inner Loop Header: Depth=3
	s_wait_alu 0xfffe
	s_lshl_b32 s3, s3, 1
	s_wait_alu 0xfffe
	v_dual_mov_b32 v1, s3 :: v_dual_add_nc_u32 v10, -1, v10
	s_delay_alu instid0(VALU_DEP_1)
	v_cmp_eq_u32_e64 s0, 0, v10
	s_or_b32 s2, s0, s2
	s_wait_alu 0xfffe
	s_and_not1_b32 exec_lo, exec_lo, s2
	s_cbranch_execnz .LBB0_140
; %bb.141:                              ;   in Loop: Header=BB0_138 Depth=2
	s_or_b32 exec_lo, exec_lo, s2
.LBB0_142:                              ;   in Loop: Header=BB0_138 Depth=2
	s_wait_alu 0xfffe
	s_or_b32 exec_lo, exec_lo, s1
	v_cmp_lt_u32_e64 s0, s21, v1
	s_cmp_lg_u32 s21, 0
	s_cselect_b32 s1, -1, 0
	s_wait_alu 0xfffe
	s_and_b32 s1, s1, s0
	s_wait_alu 0xfffe
	s_and_saveexec_b32 s22, s1
	s_cbranch_execz .LBB0_166
; %bb.143:                              ;   in Loop: Header=BB0_138 Depth=2
	v_add_nc_u32_e32 v1, 1, v2
	v_cmp_lt_i32_e64 s1, 0, v2
	s_delay_alu instid0(VALU_DEP_2)
	v_mov_b32_e32 v2, v1
	s_and_saveexec_b32 s23, s1
	s_cbranch_execz .LBB0_165
; %bb.144:                              ;   in Loop: Header=BB0_138 Depth=2
	s_mov_b32 s24, 0
	s_mov_b64 s[12:13], 9
	s_wait_alu 0xfffe
	v_mov_b32_e32 v2, s24
                                        ; implicit-def: $sgpr25
	s_branch .LBB0_154
.LBB0_145:                              ;   in Loop: Header=BB0_154 Depth=3
	s_wait_alu 0xfffe
	s_or_b32 exec_lo, exec_lo, s2
	s_delay_alu instid0(SALU_CYCLE_1)
	s_or_not1_b32 s2, s3, exec_lo
.LBB0_146:                              ;   in Loop: Header=BB0_154 Depth=3
	s_or_b32 exec_lo, exec_lo, s15
	s_wait_alu 0xfffe
	s_or_not1_b32 s2, s2, exec_lo
.LBB0_147:                              ;   in Loop: Header=BB0_154 Depth=3
	s_or_b32 exec_lo, exec_lo, s33
	s_wait_alu 0xfffe
	s_or_not1_b32 s2, s2, exec_lo
.LBB0_148:                              ;   in Loop: Header=BB0_154 Depth=3
	s_or_b32 exec_lo, exec_lo, s31
	s_wait_alu 0xfffe
	s_or_not1_b32 s2, s2, exec_lo
.LBB0_149:                              ;   in Loop: Header=BB0_154 Depth=3
	s_or_b32 exec_lo, exec_lo, s30
	s_wait_alu 0xfffe
	s_or_not1_b32 s2, s2, exec_lo
.LBB0_150:                              ;   in Loop: Header=BB0_154 Depth=3
	s_or_b32 exec_lo, exec_lo, s29
	s_wait_alu 0xfffe
	s_or_not1_b32 s2, s2, exec_lo
.LBB0_151:                              ;   in Loop: Header=BB0_154 Depth=3
	s_or_b32 exec_lo, exec_lo, s28
	s_wait_alu 0xfffe
	s_or_not1_b32 s2, s2, exec_lo
.LBB0_152:                              ;   in Loop: Header=BB0_154 Depth=3
	s_or_b32 exec_lo, exec_lo, s27
	s_delay_alu instid0(SALU_CYCLE_1)
	s_and_not1_b32 s1, s25, exec_lo
	s_wait_alu 0xfffe
	s_and_b32 s2, s2, exec_lo
	s_wait_alu 0xfffe
	s_or_b32 s25, s1, s2
.LBB0_153:                              ;   in Loop: Header=BB0_154 Depth=3
	s_or_b32 exec_lo, exec_lo, s26
	s_wait_alu 0xfffe
	s_and_b32 s1, exec_lo, s25
	s_wait_alu 0xfffe
	s_or_b32 s24, s1, s24
	s_wait_alu 0xfffe
	s_and_not1_b32 exec_lo, exec_lo, s24
	s_cbranch_execz .LBB0_164
.LBB0_154:                              ;   Parent Loop BB0_41 Depth=1
                                        ;     Parent Loop BB0_138 Depth=2
                                        ; =>    This Inner Loop Header: Depth=3
	s_add_nc_u64 s[14:15], s[12:13], -8
	s_mov_b32 s26, exec_lo
	s_cmp_eq_u32 s14, 1
	s_cselect_b32 s1, -1, 0
	s_cmp_eq_u32 s14, 2
	s_wait_alu 0xfffe
	v_cndmask_b32_e64 v1, v2, v3, s1
	s_cselect_b32 s2, -1, 0
	s_cmp_eq_u32 s14, 3
	s_cselect_b32 s3, -1, 0
	s_wait_alu 0xfffe
	v_cndmask_b32_e64 v1, v1, v4, s2
	s_cmp_eq_u32 s14, 4
	s_cselect_b32 s4, -1, 0
	s_cmp_eq_u32 s14, 0
	s_delay_alu instid0(VALU_DEP_1) | instskip(SKIP_1) | instid1(VALU_DEP_1)
	v_cndmask_b32_e64 v1, v1, v5, s3
	s_wait_alu 0xfffe
	v_cndmask_b32_e64 v1, v1, v6, s4
	s_delay_alu instid0(VALU_DEP_1) | instskip(NEXT) | instid1(VALU_DEP_1)
	v_add_nc_u32_e32 v10, 1, v1
	v_cndmask_b32_e64 v3, v3, v10, s1
	s_cselect_b32 s1, -1, 0
	v_cndmask_b32_e64 v6, v6, v10, s4
	v_cndmask_b32_e64 v5, v5, v10, s3
	;; [unrolled: 1-line block ×3, first 2 shown]
	s_wait_alu 0xfffe
	v_cndmask_b32_e64 v2, v2, v10, s1
	s_or_b32 s25, s25, exec_lo
	v_cmpx_lt_i32_e32 0, v1
	s_cbranch_execz .LBB0_153
; %bb.155:                              ;   in Loop: Header=BB0_154 Depth=3
	s_cmp_lg_u32 s14, 4
	s_mov_b32 s27, exec_lo
	s_cselect_b32 s1, -1, 0
	s_cmp_lg_u32 s14, 3
	s_wait_alu 0xfffe
	v_cndmask_b32_e64 v6, 0, v6, s1
	s_cselect_b32 s2, -1, 0
	s_cmp_lg_u32 s14, 2
	s_wait_alu 0xfffe
	v_cndmask_b32_e64 v5, 0, v5, s2
	s_cselect_b32 s3, -1, 0
	s_cmp_lg_u32 s14, 1
	s_cselect_b32 s4, -1, 0
	s_cmp_lg_u32 s14, 0
	s_wait_alu 0xfffe
	v_cndmask_b32_e64 v1, 0, v3, s4
	s_cselect_b32 s4, -1, 0
	s_add_nc_u64 s[14:15], s[12:13], -7
	s_wait_alu 0xfffe
	v_cndmask_b32_e64 v2, 0, v2, s4
	s_cmp_eq_u32 s14, 1
	v_cndmask_b32_e64 v3, 0, v4, s3
	s_cselect_b32 s3, -1, 0
	s_cmp_eq_u32 s14, 2
	s_wait_alu 0xfffe
	v_cndmask_b32_e64 v4, v2, v1, s3
	s_cselect_b32 s2, -1, 0
	s_cmp_eq_u32 s14, 3
	s_cselect_b32 s1, -1, 0
	s_wait_alu 0xfffe
	v_cndmask_b32_e64 v4, v4, v3, s2
	s_cmp_eq_u32 s14, 4
	s_cselect_b32 s4, -1, 0
	s_cmp_eq_u32 s14, 0
	s_delay_alu instid0(VALU_DEP_1) | instskip(SKIP_1) | instid1(VALU_DEP_1)
	v_cndmask_b32_e64 v4, v4, v5, s1
	s_wait_alu 0xfffe
	v_cndmask_b32_e64 v10, v4, v6, s4
	s_delay_alu instid0(VALU_DEP_1) | instskip(NEXT) | instid1(VALU_DEP_1)
	v_add_nc_u32_e32 v11, 1, v10
	v_cndmask_b32_e64 v5, v5, v11, s1
	s_cselect_b32 s1, -1, 0
	v_cndmask_b32_e64 v6, v6, v11, s4
	v_cndmask_b32_e64 v4, v3, v11, s2
	v_cndmask_b32_e64 v3, v1, v11, s3
	s_wait_alu 0xfffe
	v_cndmask_b32_e64 v2, v2, v11, s1
	s_mov_b32 s2, -1
	v_cmpx_lt_i32_e32 0, v10
	s_cbranch_execz .LBB0_152
; %bb.156:                              ;   in Loop: Header=BB0_154 Depth=3
	s_cmp_lg_u32 s14, 4
	s_mov_b32 s28, exec_lo
	s_cselect_b32 s1, -1, 0
	s_cmp_lg_u32 s14, 3
	s_wait_alu 0xfffe
	v_cndmask_b32_e64 v6, 0, v6, s1
	s_cselect_b32 s2, -1, 0
	s_cmp_lg_u32 s14, 2
	s_wait_alu 0xfffe
	v_cndmask_b32_e64 v5, 0, v5, s2
	s_cselect_b32 s3, -1, 0
	s_cmp_lg_u32 s14, 1
	s_cselect_b32 s4, -1, 0
	s_cmp_lg_u32 s14, 0
	s_wait_alu 0xfffe
	v_cndmask_b32_e64 v1, 0, v3, s4
	s_cselect_b32 s4, -1, 0
	s_add_nc_u64 s[14:15], s[12:13], -6
	s_wait_alu 0xfffe
	v_cndmask_b32_e64 v2, 0, v2, s4
	s_cmp_eq_u32 s14, 1
	v_cndmask_b32_e64 v3, 0, v4, s3
	s_cselect_b32 s3, -1, 0
	s_cmp_eq_u32 s14, 2
	s_wait_alu 0xfffe
	v_cndmask_b32_e64 v4, v2, v1, s3
	s_cselect_b32 s2, -1, 0
	s_cmp_eq_u32 s14, 3
	s_cselect_b32 s1, -1, 0
	s_wait_alu 0xfffe
	v_cndmask_b32_e64 v4, v4, v3, s2
	s_cmp_eq_u32 s14, 4
	s_cselect_b32 s4, -1, 0
	s_cmp_eq_u32 s14, 0
	s_delay_alu instid0(VALU_DEP_1) | instskip(SKIP_1) | instid1(VALU_DEP_1)
	v_cndmask_b32_e64 v4, v4, v5, s1
	s_wait_alu 0xfffe
	v_cndmask_b32_e64 v10, v4, v6, s4
	s_delay_alu instid0(VALU_DEP_1) | instskip(NEXT) | instid1(VALU_DEP_1)
	v_add_nc_u32_e32 v11, 1, v10
	v_cndmask_b32_e64 v5, v5, v11, s1
	s_cselect_b32 s1, -1, 0
	v_cndmask_b32_e64 v6, v6, v11, s4
	v_cndmask_b32_e64 v4, v3, v11, s2
	v_cndmask_b32_e64 v3, v1, v11, s3
	s_wait_alu 0xfffe
	v_cndmask_b32_e64 v2, v2, v11, s1
	s_mov_b32 s2, -1
	;; [unrolled: 51-line block ×6, first 2 shown]
	v_cmpx_lt_i32_e32 0, v10
	s_cbranch_execz .LBB0_147
; %bb.161:                              ;   in Loop: Header=BB0_154 Depth=3
	s_cmp_lg_u32 s14, 4
	s_cselect_b32 s1, -1, 0
	s_cmp_lg_u32 s14, 3
	s_wait_alu 0xfffe
	v_cndmask_b32_e64 v6, 0, v6, s1
	s_cselect_b32 s2, -1, 0
	s_cmp_lg_u32 s14, 2
	s_wait_alu 0xfffe
	v_cndmask_b32_e64 v5, 0, v5, s2
	s_cselect_b32 s3, -1, 0
	s_cmp_lg_u32 s14, 1
	s_cselect_b32 s4, -1, 0
	s_cmp_lg_u32 s14, 0
	s_wait_alu 0xfffe
	v_cndmask_b32_e64 v1, 0, v3, s4
	s_cselect_b32 s4, -1, 0
	s_add_nc_u64 s[14:15], s[12:13], -1
	s_wait_alu 0xfffe
	v_cndmask_b32_e64 v2, 0, v2, s4
	s_cmp_eq_u32 s14, 1
	v_cndmask_b32_e64 v3, 0, v4, s3
	s_cselect_b32 s3, -1, 0
	s_cmp_eq_u32 s14, 2
	s_wait_alu 0xfffe
	v_cndmask_b32_e64 v4, v2, v1, s3
	s_cselect_b32 s2, -1, 0
	s_cmp_eq_u32 s14, 3
	s_mov_b32 s15, exec_lo
	s_cselect_b32 s1, -1, 0
	s_wait_alu 0xfffe
	v_cndmask_b32_e64 v4, v4, v3, s2
	s_cmp_eq_u32 s14, 4
	s_cselect_b32 s4, -1, 0
	s_cmp_eq_u32 s14, 0
	s_delay_alu instid0(VALU_DEP_1) | instskip(SKIP_1) | instid1(VALU_DEP_1)
	v_cndmask_b32_e64 v4, v4, v5, s1
	s_wait_alu 0xfffe
	v_cndmask_b32_e64 v10, v4, v6, s4
	s_delay_alu instid0(VALU_DEP_1) | instskip(NEXT) | instid1(VALU_DEP_1)
	v_add_nc_u32_e32 v11, 1, v10
	v_cndmask_b32_e64 v5, v5, v11, s1
	s_cselect_b32 s1, -1, 0
	v_cndmask_b32_e64 v6, v6, v11, s4
	v_cndmask_b32_e64 v4, v3, v11, s2
	;; [unrolled: 1-line block ×3, first 2 shown]
	s_wait_alu 0xfffe
	v_cndmask_b32_e64 v2, v2, v11, s1
	s_mov_b32 s2, -1
	v_cmpx_lt_i32_e32 0, v10
	s_cbranch_execz .LBB0_146
; %bb.162:                              ;   in Loop: Header=BB0_154 Depth=3
	s_cmp_lg_u32 s14, 4
	s_cselect_b32 s1, -1, 0
	s_cmp_lg_u32 s14, 3
	s_wait_alu 0xfffe
	v_cndmask_b32_e64 v1, 0, v6, s1
	s_cselect_b32 s1, -1, 0
	s_cmp_lg_u32 s14, 2
	s_wait_alu 0xfffe
	v_cndmask_b32_e64 v5, 0, v5, s1
	;; [unrolled: 4-line block ×4, first 2 shown]
	s_cselect_b32 s1, -1, 0
	s_cmp_eq_u32 s12, 1
	s_wait_alu 0xfffe
	v_cndmask_b32_e64 v2, 0, v2, s1
	s_cselect_b32 s1, -1, 0
	s_cmp_eq_u32 s12, 2
	s_cselect_b32 s2, -1, 0
	s_wait_alu 0xfffe
	v_cndmask_b32_e64 v6, v2, v3, s1
	s_cmp_eq_u32 s12, 3
	s_cselect_b32 s3, -1, 0
	s_cmp_eq_u32 s12, 4
	s_delay_alu instid0(VALU_DEP_1) | instskip(SKIP_3) | instid1(VALU_DEP_1)
	v_cndmask_b32_e64 v6, v6, v4, s2
	s_cselect_b32 s4, -1, 0
	s_cmp_eq_u32 s12, 0
	s_wait_alu 0xfffe
	v_cndmask_b32_e64 v6, v6, v5, s3
	s_delay_alu instid0(VALU_DEP_1) | instskip(NEXT) | instid1(VALU_DEP_1)
	v_cndmask_b32_e64 v10, v6, v1, s4
	v_add_nc_u32_e32 v11, 1, v10
	s_delay_alu instid0(VALU_DEP_1)
	v_cndmask_b32_e64 v3, v3, v11, s1
	s_cselect_b32 s1, -1, 0
	v_cndmask_b32_e64 v6, v1, v11, s4
	v_cndmask_b32_e64 v5, v5, v11, s3
	;; [unrolled: 1-line block ×3, first 2 shown]
	s_wait_alu 0xfffe
	v_cndmask_b32_e64 v2, v2, v11, s1
	s_mov_b32 s3, -1
	s_mov_b32 s2, exec_lo
	v_cmpx_lt_i32_e32 0, v10
	s_cbranch_execz .LBB0_145
; %bb.163:                              ;   in Loop: Header=BB0_154 Depth=3
	s_cmp_lg_u32 s12, 4
	s_cselect_b32 s1, -1, 0
	s_cmp_lg_u32 s12, 3
	s_wait_alu 0xfffe
	v_cndmask_b32_e64 v6, 0, v6, s1
	s_cselect_b32 s1, -1, 0
	s_cmp_lg_u32 s12, 2
	s_wait_alu 0xfffe
	v_cndmask_b32_e64 v5, 0, v5, s1
	;; [unrolled: 4-line block ×3, first 2 shown]
	s_cselect_b32 s1, -1, 0
	s_cmp_lg_u32 s12, 0
	s_add_nc_u64 s[12:13], s[12:13], 9
	s_wait_alu 0xfffe
	v_cndmask_b32_e64 v3, 0, v3, s1
	s_cselect_b32 s1, -1, 0
	s_cmp_eq_u32 s12, 54
	s_wait_alu 0xfffe
	v_cndmask_b32_e64 v2, 0, v2, s1
	s_cselect_b32 s1, -1, 0
	s_wait_alu 0xfffe
	s_or_not1_b32 s3, s1, exec_lo
	s_branch .LBB0_145
.LBB0_164:                              ;   in Loop: Header=BB0_138 Depth=2
	s_or_b32 exec_lo, exec_lo, s24
.LBB0_165:                              ;   in Loop: Header=BB0_138 Depth=2
	s_wait_alu 0xfffe
	s_or_b32 exec_lo, exec_lo, s23
.LBB0_166:                              ;   in Loop: Header=BB0_138 Depth=2
	s_wait_alu 0xfffe
	s_or_b32 exec_lo, exec_lo, s22
	s_mov_b32 s1, -1
	s_and_saveexec_b32 s14, s0
	s_cbranch_execz .LBB0_137
; %bb.167:                              ;   in Loop: Header=BB0_138 Depth=2
	v_mov_b32_e32 v1, v0
	s_mov_b32 s15, 0
	s_delay_alu instid0(VALU_DEP_1)
	v_dual_mov_b32 v11, v1 :: v_dual_mov_b32 v10, v0
	s_branch .LBB0_169
.LBB0_168:                              ;   in Loop: Header=BB0_169 Depth=3
	s_wait_alu 0xfffe
	s_or_b32 exec_lo, exec_lo, s1
	s_add_co_i32 s15, s15, 3
	s_delay_alu instid0(SALU_CYCLE_1)
	s_cmp_eq_u32 s15, 0x258
	s_cbranch_scc1 .LBB0_136
.LBB0_169:                              ;   Parent Loop BB0_41 Depth=1
                                        ;     Parent Loop BB0_138 Depth=2
                                        ; =>    This Loop Header: Depth=3
                                        ;         Child Loop BB0_177 Depth 4
                                        ;         Child Loop BB0_183 Depth 4
	;; [unrolled: 1-line block ×3, first 2 shown]
	s_mul_i32 s22, s15, 45
	s_mov_b32 s0, -1
	s_and_saveexec_b32 s23, vcc_lo
	s_cbranch_execnz .LBB0_175
; %bb.170:                              ;   in Loop: Header=BB0_169 Depth=3
	s_wait_alu 0xfffe
	s_or_b32 exec_lo, exec_lo, s23
	s_and_saveexec_b32 s1, s0
	s_cbranch_execnz .LBB0_180
.LBB0_171:                              ;   in Loop: Header=BB0_169 Depth=3
	s_wait_alu 0xfffe
	s_or_b32 exec_lo, exec_lo, s1
	s_mov_b32 s0, -1
	s_and_saveexec_b32 s23, vcc_lo
	s_cbranch_execnz .LBB0_181
.LBB0_172:                              ;   in Loop: Header=BB0_169 Depth=3
	s_wait_alu 0xfffe
	s_or_b32 exec_lo, exec_lo, s23
	s_and_saveexec_b32 s1, s0
	s_cbranch_execnz .LBB0_186
.LBB0_173:                              ;   in Loop: Header=BB0_169 Depth=3
	s_wait_alu 0xfffe
	s_or_b32 exec_lo, exec_lo, s1
	s_mov_b32 s0, -1
	s_and_saveexec_b32 s23, vcc_lo
	s_cbranch_execnz .LBB0_187
.LBB0_174:                              ;   in Loop: Header=BB0_169 Depth=3
	s_wait_alu 0xfffe
	s_or_b32 exec_lo, exec_lo, s23
	s_and_saveexec_b32 s1, s0
	s_cbranch_execz .LBB0_168
	s_branch .LBB0_192
.LBB0_175:                              ;   in Loop: Header=BB0_169 Depth=3
	s_mov_b64 s[12:13], 0
	s_mov_b32 s24, 0
                                        ; implicit-def: $sgpr25
                                        ; implicit-def: $sgpr27
                                        ; implicit-def: $sgpr26
	s_branch .LBB0_177
.LBB0_176:                              ;   in Loop: Header=BB0_177 Depth=4
	s_wait_alu 0xfffe
	s_or_b32 exec_lo, exec_lo, s1
	s_xor_b32 s0, s26, -1
	s_and_b32 s1, exec_lo, s27
	s_wait_alu 0xfffe
	s_or_b32 s24, s1, s24
	s_and_not1_b32 s1, s25, exec_lo
	s_and_b32 s0, s0, exec_lo
	s_wait_alu 0xfffe
	s_or_b32 s25, s1, s0
	s_and_not1_b32 exec_lo, exec_lo, s24
	s_cbranch_execz .LBB0_179
.LBB0_177:                              ;   Parent Loop BB0_41 Depth=1
                                        ;     Parent Loop BB0_138 Depth=2
                                        ;       Parent Loop BB0_169 Depth=3
                                        ; =>      This Inner Loop Header: Depth=4
	s_wait_alu 0xfffe
	s_cmp_eq_u32 s12, 1
	s_cselect_b32 s0, -1, 0
	s_cmp_eq_u32 s12, 2
	s_wait_alu 0xfffe
	v_cndmask_b32_e64 v1, v16, v15, s0
	s_cselect_b32 s1, -1, 0
	s_cmp_eq_u32 s12, 3
	s_cselect_b32 s2, -1, 0
	s_wait_alu 0xfffe
	v_cndmask_b32_e64 v1, v1, v14, s1
	s_cmp_eq_u32 s12, 4
	s_cselect_b32 s3, -1, 0
	s_or_b32 s26, s26, exec_lo
	s_delay_alu instid0(VALU_DEP_1) | instskip(SKIP_2) | instid1(VALU_DEP_1)
	v_cndmask_b32_e64 v1, v1, v13, s2
	s_or_b32 s27, s27, exec_lo
	s_wait_alu 0xfffe
	v_cndmask_b32_e64 v1, v1, v12, s3
	s_delay_alu instid0(VALU_DEP_1) | instskip(SKIP_3) | instid1(VALU_DEP_1)
	v_lshlrev_b32_e32 v1, 2, v1
	scratch_load_b32 v1, v1, off
	s_wait_loadcnt 0x0
	v_add_nc_u32_e32 v63, s22, v1
	v_ashrrev_i32_e32 v64, 31, v63
	s_delay_alu instid0(VALU_DEP_1) | instskip(NEXT) | instid1(VALU_DEP_1)
	v_lshlrev_b64_e32 v[63:64], 2, v[63:64]
	v_add_co_u32 v63, s4, s10, v63
	s_wait_alu 0xf1ff
	s_delay_alu instid0(VALU_DEP_2) | instskip(SKIP_2) | instid1(VALU_DEP_1)
	v_add_co_ci_u32_e64 v64, null, s11, v64, s4
	global_load_b32 v1, v[63:64], off
	v_cndmask_b32_e64 v63, v2, v3, s0
	v_cndmask_b32_e64 v63, v63, v4, s1
	s_mov_b32 s1, exec_lo
	s_delay_alu instid0(VALU_DEP_1) | instskip(NEXT) | instid1(VALU_DEP_1)
	v_cndmask_b32_e64 v63, v63, v5, s2
	v_cndmask_b32_e64 v63, v63, v6, s3
	s_wait_loadcnt 0x0
	s_delay_alu instid0(VALU_DEP_1)
	v_cmpx_eq_u32_e64 v1, v63
	s_cbranch_execz .LBB0_176
; %bb.178:                              ;   in Loop: Header=BB0_177 Depth=4
	s_add_nc_u64 s[12:13], s[12:13], 1
	s_and_not1_b32 s2, s27, exec_lo
	s_wait_alu 0xfffe
	v_cmp_eq_u32_e64 s0, s12, v18
	s_and_not1_b32 s26, s26, exec_lo
	s_and_b32 s0, s0, exec_lo
	s_wait_alu 0xfffe
	s_or_b32 s27, s2, s0
	s_branch .LBB0_176
.LBB0_179:                              ;   in Loop: Header=BB0_169 Depth=3
	s_or_b32 exec_lo, exec_lo, s24
	s_wait_alu 0xfffe
	s_or_not1_b32 s0, s25, exec_lo
	s_or_b32 exec_lo, exec_lo, s23
	s_wait_alu 0xfffe
	s_and_saveexec_b32 s1, s0
	s_cbranch_execz .LBB0_171
.LBB0_180:                              ;   in Loop: Header=BB0_169 Depth=3
	s_add_co_i32 s4, s22, s19
	s_wait_alu 0xfffe
	s_lshl_b64 s[2:3], s[4:5], 2
	s_wait_alu 0xfffe
	s_add_nc_u64 s[2:3], s[10:11], s[2:3]
	s_load_b32 s2, s[2:3], 0x0
	s_wait_kmcnt 0x0
	s_cmp_eq_u32 s2, 1
	s_cselect_b32 s0, -1, 0
	s_cmp_eq_u32 s2, 0
	s_wait_alu 0xfffe
	v_cndmask_b32_e64 v1, v10, v11, s0
	s_delay_alu instid0(VALU_DEP_1) | instskip(NEXT) | instid1(VALU_DEP_1)
	v_add_nc_u32_e32 v1, 1, v1
	v_cndmask_b32_e64 v11, v11, v1, s0
	s_cselect_b32 s0, -1, 0
	s_wait_alu 0xfffe
	v_cndmask_b32_e64 v10, v10, v1, s0
	s_or_b32 exec_lo, exec_lo, s1
	s_mov_b32 s0, -1
	s_and_saveexec_b32 s23, vcc_lo
	s_cbranch_execz .LBB0_172
.LBB0_181:                              ;   in Loop: Header=BB0_169 Depth=3
	s_add_co_i32 s24, s22, 45
	s_mov_b64 s[12:13], 0
	s_mov_b32 s25, 0
                                        ; implicit-def: $sgpr26
                                        ; implicit-def: $sgpr28
                                        ; implicit-def: $sgpr27
	s_branch .LBB0_183
.LBB0_182:                              ;   in Loop: Header=BB0_183 Depth=4
	s_wait_alu 0xfffe
	s_or_b32 exec_lo, exec_lo, s1
	s_xor_b32 s0, s27, -1
	s_and_b32 s1, exec_lo, s28
	s_wait_alu 0xfffe
	s_or_b32 s25, s1, s25
	s_and_not1_b32 s1, s26, exec_lo
	s_and_b32 s0, s0, exec_lo
	s_wait_alu 0xfffe
	s_or_b32 s26, s1, s0
	s_and_not1_b32 exec_lo, exec_lo, s25
	s_cbranch_execz .LBB0_185
.LBB0_183:                              ;   Parent Loop BB0_41 Depth=1
                                        ;     Parent Loop BB0_138 Depth=2
                                        ;       Parent Loop BB0_169 Depth=3
                                        ; =>      This Inner Loop Header: Depth=4
	s_wait_alu 0xfffe
	s_cmp_eq_u32 s12, 1
	s_cselect_b32 s0, -1, 0
	s_cmp_eq_u32 s12, 2
	s_wait_alu 0xfffe
	v_cndmask_b32_e64 v1, v16, v15, s0
	s_cselect_b32 s1, -1, 0
	s_cmp_eq_u32 s12, 3
	s_cselect_b32 s2, -1, 0
	s_wait_alu 0xfffe
	v_cndmask_b32_e64 v1, v1, v14, s1
	s_cmp_eq_u32 s12, 4
	s_cselect_b32 s3, -1, 0
	s_or_b32 s27, s27, exec_lo
	s_delay_alu instid0(VALU_DEP_1) | instskip(SKIP_2) | instid1(VALU_DEP_1)
	v_cndmask_b32_e64 v1, v1, v13, s2
	s_or_b32 s28, s28, exec_lo
	s_wait_alu 0xfffe
	v_cndmask_b32_e64 v1, v1, v12, s3
	s_delay_alu instid0(VALU_DEP_1) | instskip(SKIP_3) | instid1(VALU_DEP_1)
	v_lshlrev_b32_e32 v1, 2, v1
	scratch_load_b32 v1, v1, off
	s_wait_loadcnt 0x0
	v_add_nc_u32_e32 v63, s24, v1
	v_ashrrev_i32_e32 v64, 31, v63
	s_delay_alu instid0(VALU_DEP_1) | instskip(NEXT) | instid1(VALU_DEP_1)
	v_lshlrev_b64_e32 v[63:64], 2, v[63:64]
	v_add_co_u32 v63, s4, s10, v63
	s_wait_alu 0xf1ff
	s_delay_alu instid0(VALU_DEP_2) | instskip(SKIP_2) | instid1(VALU_DEP_1)
	v_add_co_ci_u32_e64 v64, null, s11, v64, s4
	global_load_b32 v1, v[63:64], off
	v_cndmask_b32_e64 v63, v2, v3, s0
	v_cndmask_b32_e64 v63, v63, v4, s1
	s_mov_b32 s1, exec_lo
	s_delay_alu instid0(VALU_DEP_1) | instskip(NEXT) | instid1(VALU_DEP_1)
	v_cndmask_b32_e64 v63, v63, v5, s2
	v_cndmask_b32_e64 v63, v63, v6, s3
	s_wait_loadcnt 0x0
	s_delay_alu instid0(VALU_DEP_1)
	v_cmpx_eq_u32_e64 v1, v63
	s_cbranch_execz .LBB0_182
; %bb.184:                              ;   in Loop: Header=BB0_183 Depth=4
	s_add_nc_u64 s[12:13], s[12:13], 1
	s_and_not1_b32 s2, s28, exec_lo
	s_wait_alu 0xfffe
	v_cmp_eq_u32_e64 s0, s12, v18
	s_and_not1_b32 s27, s27, exec_lo
	s_and_b32 s0, s0, exec_lo
	s_wait_alu 0xfffe
	s_or_b32 s28, s2, s0
	s_branch .LBB0_182
.LBB0_185:                              ;   in Loop: Header=BB0_169 Depth=3
	s_or_b32 exec_lo, exec_lo, s25
	s_delay_alu instid0(SALU_CYCLE_1)
	s_or_not1_b32 s0, s26, exec_lo
	s_or_b32 exec_lo, exec_lo, s23
	s_wait_alu 0xfffe
	s_and_saveexec_b32 s1, s0
	s_cbranch_execz .LBB0_173
.LBB0_186:                              ;   in Loop: Header=BB0_169 Depth=3
	s_add_co_i32 s4, s22, s19
	s_wait_alu 0xfffe
	s_lshl_b64 s[2:3], s[4:5], 2
	s_wait_alu 0xfffe
	s_add_nc_u64 s[2:3], s[10:11], s[2:3]
	s_load_b32 s2, s[2:3], 0xb4
	s_wait_kmcnt 0x0
	s_cmp_eq_u32 s2, 1
	s_cselect_b32 s0, -1, 0
	s_cmp_eq_u32 s2, 0
	s_wait_alu 0xfffe
	v_cndmask_b32_e64 v1, v10, v11, s0
	s_delay_alu instid0(VALU_DEP_1) | instskip(NEXT) | instid1(VALU_DEP_1)
	v_add_nc_u32_e32 v1, 1, v1
	v_cndmask_b32_e64 v11, v11, v1, s0
	s_cselect_b32 s0, -1, 0
	s_wait_alu 0xfffe
	v_cndmask_b32_e64 v10, v10, v1, s0
	s_or_b32 exec_lo, exec_lo, s1
	s_mov_b32 s0, -1
	s_and_saveexec_b32 s23, vcc_lo
	s_cbranch_execz .LBB0_174
.LBB0_187:                              ;   in Loop: Header=BB0_169 Depth=3
	s_add_co_i32 s24, s22, 0x5a
	s_mov_b64 s[12:13], 0
	s_mov_b32 s25, 0
                                        ; implicit-def: $sgpr26
                                        ; implicit-def: $sgpr28
                                        ; implicit-def: $sgpr27
	s_branch .LBB0_189
.LBB0_188:                              ;   in Loop: Header=BB0_189 Depth=4
	s_wait_alu 0xfffe
	s_or_b32 exec_lo, exec_lo, s1
	s_xor_b32 s0, s27, -1
	s_and_b32 s1, exec_lo, s28
	s_wait_alu 0xfffe
	s_or_b32 s25, s1, s25
	s_and_not1_b32 s1, s26, exec_lo
	s_and_b32 s0, s0, exec_lo
	s_wait_alu 0xfffe
	s_or_b32 s26, s1, s0
	s_and_not1_b32 exec_lo, exec_lo, s25
	s_cbranch_execz .LBB0_191
.LBB0_189:                              ;   Parent Loop BB0_41 Depth=1
                                        ;     Parent Loop BB0_138 Depth=2
                                        ;       Parent Loop BB0_169 Depth=3
                                        ; =>      This Inner Loop Header: Depth=4
	s_wait_alu 0xfffe
	s_cmp_eq_u32 s12, 1
	s_cselect_b32 s0, -1, 0
	s_cmp_eq_u32 s12, 2
	s_wait_alu 0xfffe
	v_cndmask_b32_e64 v1, v16, v15, s0
	s_cselect_b32 s1, -1, 0
	s_cmp_eq_u32 s12, 3
	s_cselect_b32 s2, -1, 0
	s_wait_alu 0xfffe
	v_cndmask_b32_e64 v1, v1, v14, s1
	s_cmp_eq_u32 s12, 4
	s_cselect_b32 s3, -1, 0
	s_or_b32 s27, s27, exec_lo
	s_delay_alu instid0(VALU_DEP_1) | instskip(SKIP_2) | instid1(VALU_DEP_1)
	v_cndmask_b32_e64 v1, v1, v13, s2
	s_or_b32 s28, s28, exec_lo
	s_wait_alu 0xfffe
	v_cndmask_b32_e64 v1, v1, v12, s3
	s_delay_alu instid0(VALU_DEP_1) | instskip(SKIP_3) | instid1(VALU_DEP_1)
	v_lshlrev_b32_e32 v1, 2, v1
	scratch_load_b32 v1, v1, off
	s_wait_loadcnt 0x0
	v_add_nc_u32_e32 v63, s24, v1
	v_ashrrev_i32_e32 v64, 31, v63
	s_delay_alu instid0(VALU_DEP_1) | instskip(NEXT) | instid1(VALU_DEP_1)
	v_lshlrev_b64_e32 v[63:64], 2, v[63:64]
	v_add_co_u32 v63, s4, s10, v63
	s_wait_alu 0xf1ff
	s_delay_alu instid0(VALU_DEP_2) | instskip(SKIP_2) | instid1(VALU_DEP_1)
	v_add_co_ci_u32_e64 v64, null, s11, v64, s4
	global_load_b32 v1, v[63:64], off
	v_cndmask_b32_e64 v63, v2, v3, s0
	v_cndmask_b32_e64 v63, v63, v4, s1
	s_mov_b32 s1, exec_lo
	s_delay_alu instid0(VALU_DEP_1) | instskip(NEXT) | instid1(VALU_DEP_1)
	v_cndmask_b32_e64 v63, v63, v5, s2
	v_cndmask_b32_e64 v63, v63, v6, s3
	s_wait_loadcnt 0x0
	s_delay_alu instid0(VALU_DEP_1)
	v_cmpx_eq_u32_e64 v1, v63
	s_cbranch_execz .LBB0_188
; %bb.190:                              ;   in Loop: Header=BB0_189 Depth=4
	s_add_nc_u64 s[12:13], s[12:13], 1
	s_and_not1_b32 s2, s28, exec_lo
	s_wait_alu 0xfffe
	v_cmp_eq_u32_e64 s0, s12, v18
	s_and_not1_b32 s27, s27, exec_lo
	s_and_b32 s0, s0, exec_lo
	s_wait_alu 0xfffe
	s_or_b32 s28, s2, s0
	s_branch .LBB0_188
.LBB0_191:                              ;   in Loop: Header=BB0_169 Depth=3
	s_or_b32 exec_lo, exec_lo, s25
	s_delay_alu instid0(SALU_CYCLE_1)
	s_or_not1_b32 s0, s26, exec_lo
	s_or_b32 exec_lo, exec_lo, s23
	s_wait_alu 0xfffe
	s_and_saveexec_b32 s1, s0
	s_cbranch_execz .LBB0_168
.LBB0_192:                              ;   in Loop: Header=BB0_169 Depth=3
	s_add_co_i32 s4, s22, s19
	s_wait_alu 0xfffe
	s_lshl_b64 s[2:3], s[4:5], 2
	s_wait_alu 0xfffe
	s_add_nc_u64 s[2:3], s[10:11], s[2:3]
	s_load_b32 s2, s[2:3], 0x168
	s_wait_kmcnt 0x0
	s_cmp_eq_u32 s2, 1
	s_cselect_b32 s0, -1, 0
	s_cmp_eq_u32 s2, 0
	s_wait_alu 0xfffe
	v_cndmask_b32_e64 v1, v10, v11, s0
	s_delay_alu instid0(VALU_DEP_1) | instskip(NEXT) | instid1(VALU_DEP_1)
	v_add_nc_u32_e32 v1, 1, v1
	v_cndmask_b32_e64 v11, v11, v1, s0
	s_cselect_b32 s0, -1, 0
	s_wait_alu 0xfffe
	v_cndmask_b32_e64 v10, v10, v1, s0
	s_branch .LBB0_168
.LBB0_193:
	s_endpgm
	.section	.rodata,"a",@progbits
	.p2align	6, 0x0
	.amdhsa_kernel _Z14genScoreKerneliPfPKiPKf
		.amdhsa_group_segment_fixed_size 0
		.amdhsa_private_segment_fixed_size 192
		.amdhsa_kernarg_size 32
		.amdhsa_user_sgpr_count 2
		.amdhsa_user_sgpr_dispatch_ptr 0
		.amdhsa_user_sgpr_queue_ptr 0
		.amdhsa_user_sgpr_kernarg_segment_ptr 1
		.amdhsa_user_sgpr_dispatch_id 0
		.amdhsa_user_sgpr_private_segment_size 0
		.amdhsa_wavefront_size32 1
		.amdhsa_uses_dynamic_stack 0
		.amdhsa_enable_private_segment 1
		.amdhsa_system_sgpr_workgroup_id_x 1
		.amdhsa_system_sgpr_workgroup_id_y 0
		.amdhsa_system_sgpr_workgroup_id_z 0
		.amdhsa_system_sgpr_workgroup_info 0
		.amdhsa_system_vgpr_workitem_id 0
		.amdhsa_next_free_vgpr 67
		.amdhsa_next_free_sgpr 34
		.amdhsa_reserve_vcc 1
		.amdhsa_float_round_mode_32 0
		.amdhsa_float_round_mode_16_64 0
		.amdhsa_float_denorm_mode_32 3
		.amdhsa_float_denorm_mode_16_64 3
		.amdhsa_fp16_overflow 0
		.amdhsa_workgroup_processor_mode 1
		.amdhsa_memory_ordered 1
		.amdhsa_forward_progress 1
		.amdhsa_inst_pref_size 70
		.amdhsa_round_robin_scheduling 0
		.amdhsa_exception_fp_ieee_invalid_op 0
		.amdhsa_exception_fp_denorm_src 0
		.amdhsa_exception_fp_ieee_div_zero 0
		.amdhsa_exception_fp_ieee_overflow 0
		.amdhsa_exception_fp_ieee_underflow 0
		.amdhsa_exception_fp_ieee_inexact 0
		.amdhsa_exception_int_div_zero 0
	.end_amdhsa_kernel
	.text
.Lfunc_end0:
	.size	_Z14genScoreKerneliPfPKiPKf, .Lfunc_end0-_Z14genScoreKerneliPfPKiPKf
                                        ; -- End function
	.set _Z14genScoreKerneliPfPKiPKf.num_vgpr, 67
	.set _Z14genScoreKerneliPfPKiPKf.num_agpr, 0
	.set _Z14genScoreKerneliPfPKiPKf.numbered_sgpr, 34
	.set _Z14genScoreKerneliPfPKiPKf.num_named_barrier, 0
	.set _Z14genScoreKerneliPfPKiPKf.private_seg_size, 192
	.set _Z14genScoreKerneliPfPKiPKf.uses_vcc, 1
	.set _Z14genScoreKerneliPfPKiPKf.uses_flat_scratch, 1
	.set _Z14genScoreKerneliPfPKiPKf.has_dyn_sized_stack, 0
	.set _Z14genScoreKerneliPfPKiPKf.has_recursion, 0
	.set _Z14genScoreKerneliPfPKiPKf.has_indirect_call, 0
	.section	.AMDGPU.csdata,"",@progbits
; Kernel info:
; codeLenInByte = 8876
; TotalNumSgprs: 36
; NumVgprs: 67
; ScratchSize: 192
; MemoryBound: 0
; FloatMode: 240
; IeeeMode: 1
; LDSByteSize: 0 bytes/workgroup (compile time only)
; SGPRBlocks: 0
; VGPRBlocks: 8
; NumSGPRsForWavesPerEU: 36
; NumVGPRsForWavesPerEU: 67
; Occupancy: 16
; WaveLimiterHint : 0
; COMPUTE_PGM_RSRC2:SCRATCH_EN: 1
; COMPUTE_PGM_RSRC2:USER_SGPR: 2
; COMPUTE_PGM_RSRC2:TRAP_HANDLER: 0
; COMPUTE_PGM_RSRC2:TGID_X_EN: 1
; COMPUTE_PGM_RSRC2:TGID_Y_EN: 0
; COMPUTE_PGM_RSRC2:TGID_Z_EN: 0
; COMPUTE_PGM_RSRC2:TIDIG_COMP_CNT: 0
	.text
	.protected	_Z13computeKerneliiPKfPKbiiPfPi ; -- Begin function _Z13computeKerneliiPKfPKbiiPfPi
	.globl	_Z13computeKerneliiPKfPKbiiPfPi
	.p2align	8
	.type	_Z13computeKerneliiPKfPKbiiPfPi,@function
_Z13computeKerneliiPKfPKbiiPfPi:        ; @_Z13computeKerneliiPKfPKbiiPfPi
; %bb.0:
	s_load_b128 s[4:7], s[0:1], 0x8
	s_mov_b32 s12, 0
	s_getpc_b64 s[2:3]
	s_sext_i32_i16 s3, s3
	s_add_co_u32 s2, s2, __const._Z13computeKerneliiPKfPKbiiPfPi.parent@rel32@lo+8
	s_add_co_ci_u32 s3, s3, __const._Z13computeKerneliiPKfPKbiiPfPi.parent@rel32@hi+16
	s_mov_b32 s13, s12
	s_mov_b32 s14, s12
	;; [unrolled: 1-line block ×3, first 2 shown]
	v_dual_mov_b32 v1, 0 :: v_dual_mov_b32 v2, s12
	s_load_b128 s[8:11], s[2:3], 0x0
	v_dual_mov_b32 v3, s13 :: v_dual_mov_b32 v4, s14
	s_wait_kmcnt 0x0
	global_load_u8 v6, v1, s[6:7]
	s_wait_loadcnt 0x0
	v_dual_mov_b32 v5, s15 :: v_dual_and_b32 v10, 1, v6
	v_dual_mov_b32 v6, s8 :: v_dual_mov_b32 v7, s9
	v_dual_mov_b32 v8, s10 :: v_dual_mov_b32 v9, s11
	s_delay_alu instid0(VALU_DEP_3)
	v_cmp_eq_u32_e32 vcc_lo, 1, v10
	s_clause 0xd
	scratch_store_b32 off, v1, off offset:176
	scratch_store_b128 off, v[2:5], off offset:160
	scratch_store_b128 off, v[2:5], off offset:144
	;; [unrolled: 1-line block ×10, first 2 shown]
	scratch_store_b128 off, v[2:5], off
	scratch_store_b128 off, v[6:9], off offset:192
	scratch_store_b32 off, v1, off offset:208
	s_cbranch_vccz .LBB1_2
; %bb.1:
	s_or_b32 s2, 0, 8
	s_mov_b32 s10, 2
	scratch_store_b32 off, v1, off offset:4
	s_load_u8 s3, s[6:7], 0x1
	s_wait_kmcnt 0x0
	s_cmp_eq_u32 s3, 0
	s_cbranch_scc0 .LBB1_3
	s_branch .LBB1_4
.LBB1_2:
	s_or_b32 s2, 0, 4
	s_mov_b32 s10, 1
	s_load_u8 s3, s[6:7], 0x1
	s_wait_kmcnt 0x0
	s_cmp_eq_u32 s3, 0
	s_cbranch_scc1 .LBB1_4
.LBB1_3:
	v_mov_b32_e32 v1, 1
	s_add_co_i32 s10, s10, 1
	scratch_store_b32 off, v1, s2
.LBB1_4:
	s_load_u8 s2, s[6:7], 0x2
	s_wait_kmcnt 0x0
	s_cmp_eq_u32 s2, 0
	s_cbranch_scc0 .LBB1_124
; %bb.5:
	s_load_u8 s2, s[6:7], 0x3
	s_wait_kmcnt 0x0
	s_cmp_eq_u32 s2, 0
	s_cbranch_scc0 .LBB1_125
.LBB1_6:
	s_load_u8 s2, s[6:7], 0x4
	s_wait_kmcnt 0x0
	s_cmp_eq_u32 s2, 0
	s_cbranch_scc0 .LBB1_126
.LBB1_7:
	s_load_u8 s2, s[6:7], 0x5
	s_wait_kmcnt 0x0
	s_cmp_eq_u32 s2, 0
	s_cbranch_scc0 .LBB1_127
.LBB1_8:
	s_load_u8 s2, s[6:7], 0x6
	s_wait_kmcnt 0x0
	s_cmp_eq_u32 s2, 0
	s_cbranch_scc0 .LBB1_128
.LBB1_9:
	s_load_u8 s2, s[6:7], 0x7
	s_wait_kmcnt 0x0
	s_cmp_eq_u32 s2, 0
	s_cbranch_scc0 .LBB1_129
.LBB1_10:
	s_load_u8 s2, s[6:7], 0x8
	s_wait_kmcnt 0x0
	s_cmp_eq_u32 s2, 0
	s_cbranch_scc0 .LBB1_130
.LBB1_11:
	s_load_u8 s2, s[6:7], 0x9
	s_wait_kmcnt 0x0
	s_cmp_eq_u32 s2, 0
	s_cbranch_scc0 .LBB1_131
.LBB1_12:
	s_load_u8 s2, s[6:7], 0xa
	s_wait_kmcnt 0x0
	s_cmp_eq_u32 s2, 0
	s_cbranch_scc0 .LBB1_132
.LBB1_13:
	s_load_u8 s2, s[6:7], 0xb
	s_wait_kmcnt 0x0
	s_cmp_eq_u32 s2, 0
	s_cbranch_scc0 .LBB1_133
.LBB1_14:
	s_load_u8 s2, s[6:7], 0xc
	s_wait_kmcnt 0x0
	s_cmp_eq_u32 s2, 0
	s_cbranch_scc0 .LBB1_134
.LBB1_15:
	s_load_u8 s2, s[6:7], 0xd
	s_wait_kmcnt 0x0
	s_cmp_eq_u32 s2, 0
	s_cbranch_scc0 .LBB1_135
.LBB1_16:
	s_load_u8 s2, s[6:7], 0xe
	s_wait_kmcnt 0x0
	s_cmp_eq_u32 s2, 0
	s_cbranch_scc0 .LBB1_136
.LBB1_17:
	s_load_u8 s2, s[6:7], 0xf
	s_wait_kmcnt 0x0
	s_cmp_eq_u32 s2, 0
	s_cbranch_scc0 .LBB1_137
.LBB1_18:
	s_load_u8 s2, s[6:7], 0x10
	s_wait_kmcnt 0x0
	s_cmp_eq_u32 s2, 0
	s_cbranch_scc0 .LBB1_138
.LBB1_19:
	s_load_u8 s2, s[6:7], 0x11
	s_wait_kmcnt 0x0
	s_cmp_eq_u32 s2, 0
	s_cbranch_scc0 .LBB1_139
.LBB1_20:
	s_load_u8 s2, s[6:7], 0x12
	s_wait_kmcnt 0x0
	s_cmp_eq_u32 s2, 0
	s_cbranch_scc0 .LBB1_140
.LBB1_21:
	s_load_u8 s2, s[6:7], 0x13
	s_wait_kmcnt 0x0
	s_cmp_eq_u32 s2, 0
	s_cbranch_scc0 .LBB1_141
.LBB1_22:
	s_load_u8 s2, s[6:7], 0x14
	s_wait_kmcnt 0x0
	s_cmp_eq_u32 s2, 0
	s_cbranch_scc0 .LBB1_142
.LBB1_23:
	s_load_u8 s2, s[6:7], 0x15
	s_wait_kmcnt 0x0
	s_cmp_eq_u32 s2, 0
	s_cbranch_scc0 .LBB1_143
.LBB1_24:
	s_load_u8 s2, s[6:7], 0x16
	s_wait_kmcnt 0x0
	s_cmp_eq_u32 s2, 0
	s_cbranch_scc0 .LBB1_144
.LBB1_25:
	s_load_u8 s2, s[6:7], 0x17
	s_wait_kmcnt 0x0
	s_cmp_eq_u32 s2, 0
	s_cbranch_scc0 .LBB1_145
.LBB1_26:
	s_load_u8 s2, s[6:7], 0x18
	s_wait_kmcnt 0x0
	s_cmp_eq_u32 s2, 0
	s_cbranch_scc0 .LBB1_146
.LBB1_27:
	s_load_u8 s2, s[6:7], 0x19
	s_wait_kmcnt 0x0
	s_cmp_eq_u32 s2, 0
	s_cbranch_scc0 .LBB1_147
.LBB1_28:
	s_load_u8 s2, s[6:7], 0x1a
	s_wait_kmcnt 0x0
	s_cmp_eq_u32 s2, 0
	s_cbranch_scc0 .LBB1_148
.LBB1_29:
	s_load_u8 s2, s[6:7], 0x1b
	s_wait_kmcnt 0x0
	s_cmp_eq_u32 s2, 0
	s_cbranch_scc0 .LBB1_149
.LBB1_30:
	s_load_u8 s2, s[6:7], 0x1c
	s_wait_kmcnt 0x0
	s_cmp_eq_u32 s2, 0
	s_cbranch_scc0 .LBB1_150
.LBB1_31:
	s_load_u8 s2, s[6:7], 0x1d
	s_wait_kmcnt 0x0
	s_cmp_eq_u32 s2, 0
	s_cbranch_scc0 .LBB1_151
.LBB1_32:
	s_load_u8 s2, s[6:7], 0x1e
	s_wait_kmcnt 0x0
	s_cmp_eq_u32 s2, 0
	s_cbranch_scc0 .LBB1_152
.LBB1_33:
	s_load_u8 s2, s[6:7], 0x1f
	s_wait_kmcnt 0x0
	s_cmp_eq_u32 s2, 0
	s_cbranch_scc0 .LBB1_153
.LBB1_34:
	s_load_u8 s2, s[6:7], 0x20
	s_wait_kmcnt 0x0
	s_cmp_eq_u32 s2, 0
	s_cbranch_scc0 .LBB1_154
.LBB1_35:
	s_load_u8 s2, s[6:7], 0x21
	s_wait_kmcnt 0x0
	s_cmp_eq_u32 s2, 0
	s_cbranch_scc0 .LBB1_155
.LBB1_36:
	s_load_u8 s2, s[6:7], 0x22
	s_wait_kmcnt 0x0
	s_cmp_eq_u32 s2, 0
	s_cbranch_scc0 .LBB1_156
.LBB1_37:
	s_load_u8 s2, s[6:7], 0x23
	s_wait_kmcnt 0x0
	s_cmp_eq_u32 s2, 0
	s_cbranch_scc0 .LBB1_157
.LBB1_38:
	s_load_u8 s2, s[6:7], 0x24
	s_wait_kmcnt 0x0
	s_cmp_eq_u32 s2, 0
	s_cbranch_scc0 .LBB1_158
.LBB1_39:
	s_load_u8 s2, s[6:7], 0x25
	s_wait_kmcnt 0x0
	s_cmp_eq_u32 s2, 0
	s_cbranch_scc0 .LBB1_159
.LBB1_40:
	s_load_u8 s2, s[6:7], 0x26
	s_wait_kmcnt 0x0
	s_cmp_eq_u32 s2, 0
	s_cbranch_scc0 .LBB1_160
.LBB1_41:
	s_load_u8 s2, s[6:7], 0x27
	s_wait_kmcnt 0x0
	s_cmp_eq_u32 s2, 0
	s_cbranch_scc0 .LBB1_161
.LBB1_42:
	s_load_u8 s2, s[6:7], 0x28
	s_wait_kmcnt 0x0
	s_cmp_eq_u32 s2, 0
	s_cbranch_scc0 .LBB1_162
.LBB1_43:
	s_load_u8 s2, s[6:7], 0x29
	s_wait_kmcnt 0x0
	s_cmp_eq_u32 s2, 0
	s_cbranch_scc0 .LBB1_163
.LBB1_44:
	s_load_u8 s2, s[6:7], 0x2a
	s_wait_kmcnt 0x0
	s_cmp_eq_u32 s2, 0
	s_cbranch_scc0 .LBB1_164
.LBB1_45:
	s_load_u8 s2, s[6:7], 0x2b
	s_wait_kmcnt 0x0
	s_cmp_eq_u32 s2, 0
	s_cbranch_scc0 .LBB1_165
.LBB1_46:
	s_load_u8 s2, s[6:7], 0x2c
	s_wait_kmcnt 0x0
	s_cmp_eq_u32 s2, 0
	s_cbranch_scc0 .LBB1_166
.LBB1_47:
	s_load_b64 s[6:7], s[0:1], 0x0
	s_wait_kmcnt 0x0
	s_cmp_gt_i32 s6, 0
	s_cbranch_scc0 .LBB1_167
.LBB1_48:
	s_load_b64 s[8:9], s[0:1], 0x18
	v_lshl_add_u32 v3, ttmp9, 8, v0
	v_or_b32_e64 v10, 0xc0, 4
	v_or_b32_e64 v11, 0xc0, 8
	;; [unrolled: 1-line block ×3, first 2 shown]
	v_dual_mov_b32 v13, 0xd0 :: v_dual_mov_b32 v2, 0
	v_mul_lo_u32 v14, v3, s6
	v_dual_mov_b32 v9, 0xd8635fa9 :: v_dual_mov_b32 v4, 0
	v_mov_b32_e32 v1, 0
	v_mov_b32_e32 v3, 0
	v_mov_b32_e32 v5, -1
	s_movk_i32 s11, 0xbc
	s_mov_b32 s13, 0
                                        ; implicit-def: $sgpr14
	s_wait_kmcnt 0x0
	s_mul_i32 s7, s8, s7
	s_branch .LBB1_51
.LBB1_49:                               ;   in Loop: Header=BB1_51 Depth=1
	s_wait_alu 0xfffe
	s_or_b32 exec_lo, exec_lo, s2
	v_add_nc_u32_e32 v6, s7, v6
	s_add_co_i32 s13, s13, 1
	s_wait_alu 0xfffe
	s_cmp_eq_u32 s13, s6
	s_cselect_b32 s2, -1, 0
	v_ashrrev_i32_e32 v7, 31, v6
	s_and_not1_b32 s3, s14, exec_lo
	s_wait_alu 0xfffe
	s_and_b32 s2, s2, exec_lo
	s_wait_alu 0xfffe
	s_or_b32 s14, s3, s2
	v_lshlrev_b64_e32 v[6:7], 2, v[6:7]
	s_delay_alu instid0(VALU_DEP_1) | instskip(SKIP_1) | instid1(VALU_DEP_2)
	v_add_co_u32 v6, vcc_lo, s4, v6
	s_wait_alu 0xfffd
	v_add_co_ci_u32_e64 v7, null, s5, v7, vcc_lo
	global_load_b32 v6, v[6:7], off
	scratch_load_b128 v[15:18], off, off offset:196
	s_wait_loadcnt 0x1
	v_cmp_gt_f32_e32 vcc_lo, v6, v9
	s_wait_loadcnt 0x0
	s_wait_alu 0xfffd
	v_dual_cndmask_b32 v1, v1, v15 :: v_dual_cndmask_b32 v2, v2, v16
	v_dual_cndmask_b32 v3, v3, v17 :: v_dual_cndmask_b32 v4, v4, v18
	v_cndmask_b32_e32 v9, v9, v6, vcc_lo
.LBB1_50:                               ;   in Loop: Header=BB1_51 Depth=1
	s_wait_alu 0xfffe
	s_or_b32 exec_lo, exec_lo, s15
	s_delay_alu instid0(SALU_CYCLE_1)
	s_and_b32 s2, exec_lo, s14
	s_wait_alu 0xfffe
	s_or_b32 s12, s2, s12
	s_wait_alu 0xfffe
	s_and_not1_b32 exec_lo, exec_lo, s12
	s_cbranch_execz .LBB1_123
.LBB1_51:                               ; =>This Loop Header: Depth=1
                                        ;     Child Loop BB1_55 Depth 2
                                        ;       Child Loop BB1_56 Depth 3
                                        ;       Child Loop BB1_58 Depth 3
                                        ;     Child Loop BB1_63 Depth 2
                                        ;     Child Loop BB1_67 Depth 2
	;; [unrolled: 1-line block ×3, first 2 shown]
                                        ;       Child Loop BB1_73 Depth 3
                                        ;         Child Loop BB1_74 Depth 4
                                        ;         Child Loop BB1_76 Depth 4
                                        ;       Child Loop BB1_80 Depth 3
                                        ;       Child Loop BB1_82 Depth 3
                                        ;     Child Loop BB1_87 Depth 2
                                        ;     Child Loop BB1_99 Depth 2
	;; [unrolled: 1-line block ×3, first 2 shown]
                                        ;       Child Loop BB1_103 Depth 3
                                        ;       Child Loop BB1_105 Depth 3
                                        ;     Child Loop BB1_111 Depth 2
                                        ;       Child Loop BB1_113 Depth 3
                                        ;         Child Loop BB1_114 Depth 4
                                        ;         Child Loop BB1_116 Depth 4
	s_wait_alu 0xfffe
	v_add_nc_u32_e32 v8, s13, v14
	s_or_b32 s14, s14, exec_lo
	s_mov_b32 s15, exec_lo
	s_delay_alu instid0(VALU_DEP_1)
	v_cmpx_gt_u32_e64 s9, v8
	s_cbranch_execz .LBB1_50
; %bb.52:                               ;   in Loop: Header=BB1_51 Depth=1
	s_mov_b32 s2, exec_lo
	v_cmpx_ne_u32_e32 0, v8
	s_wait_alu 0xfffe
	s_xor_b32 s3, exec_lo, s2
	s_cbranch_execz .LBB1_89
; %bb.53:                               ;   in Loop: Header=BB1_51 Depth=1
	v_dual_mov_b32 v15, 0 :: v_dual_mov_b32 v6, 1
	s_mov_b32 s2, exec_lo
	v_cmpx_lt_i32_e32 0, v8
	s_cbranch_execz .LBB1_61
; %bb.54:                               ;   in Loop: Header=BB1_51 Depth=1
	s_mov_b32 s17, 1
	s_mov_b32 s16, 0
	s_mov_b32 s18, 0
.LBB1_55:                               ;   Parent Loop BB1_51 Depth=1
                                        ; =>  This Loop Header: Depth=2
                                        ;       Child Loop BB1_56 Depth 3
                                        ;       Child Loop BB1_58 Depth 3
	s_mov_b32 s20, 0
	s_mov_b32 s19, 1
.LBB1_56:                               ;   Parent Loop BB1_51 Depth=1
                                        ;     Parent Loop BB1_55 Depth=2
                                        ; =>    This Inner Loop Header: Depth=3
	s_wait_alu 0xfffe
	s_add_co_i32 s21, s10, s20
	s_add_co_i32 s20, s20, -1
	s_wait_alu 0xfffe
	s_mul_i32 s19, s19, s21
	s_add_co_i32 s22, s17, s20
	s_wait_alu 0xfffe
	s_cmp_lg_u32 s22, 0
	s_cbranch_scc1 .LBB1_56
; %bb.57:                               ;   in Loop: Header=BB1_55 Depth=2
	s_mov_b32 s20, s17
.LBB1_58:                               ;   Parent Loop BB1_51 Depth=1
                                        ;     Parent Loop BB1_55 Depth=2
                                        ; =>    This Inner Loop Header: Depth=3
	s_wait_alu 0xfffe
	s_abs_i32 s21, s20
	s_abs_i32 s24, s19
	s_wait_alu 0xfffe
	s_cvt_f32_u32 s22, s21
	s_sub_co_i32 s23, 0, s21
	s_xor_b32 s19, s19, s20
	s_wait_alu 0xfffe
	s_ashr_i32 s19, s19, 31
	v_rcp_iflag_f32_e32 v6, s22
	s_delay_alu instid0(TRANS32_DEP_1) | instskip(SKIP_2) | instid1(SALU_CYCLE_2)
	v_readfirstlane_b32 s22, v6
	s_mul_f32 s22, s22, 0x4f7ffffe
	s_wait_alu 0xfffe
	s_cvt_u32_f32 s22, s22
	s_wait_alu 0xfffe
	s_delay_alu instid0(SALU_CYCLE_2)
	s_mul_i32 s23, s23, s22
	s_wait_alu 0xfffe
	s_mul_hi_u32 s23, s22, s23
	s_wait_alu 0xfffe
	s_add_co_i32 s22, s22, s23
	s_wait_alu 0xfffe
	s_mul_hi_u32 s22, s24, s22
	s_wait_alu 0xfffe
	s_mul_i32 s23, s22, s21
	s_wait_alu 0xfffe
	s_sub_co_i32 s23, s24, s23
	s_add_co_i32 s24, s22, 1
	s_wait_alu 0xfffe
	s_sub_co_i32 s25, s23, s21
	s_cmp_ge_u32 s23, s21
	s_cselect_b32 s22, s24, s22
	s_cselect_b32 s23, s25, s23
	s_wait_alu 0xfffe
	s_add_co_i32 s24, s22, 1
	s_cmp_ge_u32 s23, s21
	s_cselect_b32 s21, s24, s22
	s_add_co_i32 s20, s20, -1
	s_wait_alu 0xfffe
	s_xor_b32 s21, s21, s19
	s_wait_alu 0xfffe
	s_sub_co_i32 s19, s21, s19
	s_cmp_lg_u32 s20, 0
	s_cbranch_scc1 .LBB1_58
; %bb.59:                               ;   in Loop: Header=BB1_55 Depth=2
	s_wait_alu 0xfffe
	s_add_co_i32 s18, s19, s18
	s_add_co_i32 s17, s17, 1
	s_wait_alu 0xfffe
	v_cmp_ge_i32_e32 vcc_lo, s18, v8
	v_dual_mov_b32 v6, s17 :: v_dual_mov_b32 v15, s18
	s_or_b32 s16, vcc_lo, s16
	s_wait_alu 0xfffe
	s_and_not1_b32 exec_lo, exec_lo, s16
	s_cbranch_execnz .LBB1_55
; %bb.60:                               ;   in Loop: Header=BB1_51 Depth=1
	s_or_b32 exec_lo, exec_lo, s16
.LBB1_61:                               ;   in Loop: Header=BB1_51 Depth=1
	s_wait_alu 0xfffe
	s_or_b32 exec_lo, exec_lo, s2
	v_dual_mov_b32 v16, 1 :: v_dual_add_nc_u32 v7, -1, v6
	v_cmp_lt_u32_e32 vcc_lo, 1, v6
	s_and_saveexec_b32 s16, vcc_lo
	s_cbranch_execz .LBB1_65
; %bb.62:                               ;   in Loop: Header=BB1_51 Depth=1
	s_delay_alu instid0(VALU_DEP_2)
	v_mov_b32_e32 v17, v7
	s_mov_b32 s18, 1
	s_mov_b32 s17, 0
	s_mov_b32 s19, s10
.LBB1_63:                               ;   Parent Loop BB1_51 Depth=1
                                        ; =>  This Inner Loop Header: Depth=2
	s_wait_alu 0xfffe
	s_mul_i32 s18, s18, s19
	s_wait_alu 0xfffe
	v_dual_mov_b32 v16, s18 :: v_dual_add_nc_u32 v17, -1, v17
	s_add_co_i32 s19, s19, -1
	s_delay_alu instid0(VALU_DEP_1)
	v_cmp_eq_u32_e64 s2, 0, v17
	s_or_b32 s17, s2, s17
	s_wait_alu 0xfffe
	s_and_not1_b32 exec_lo, exec_lo, s17
	s_cbranch_execnz .LBB1_63
; %bb.64:                               ;   in Loop: Header=BB1_51 Depth=1
	s_or_b32 exec_lo, exec_lo, s17
.LBB1_65:                               ;   in Loop: Header=BB1_51 Depth=1
	s_wait_alu 0xfffe
	s_or_b32 exec_lo, exec_lo, s16
	s_and_saveexec_b32 s2, vcc_lo
	s_cbranch_execz .LBB1_69
; %bb.66:                               ;   in Loop: Header=BB1_51 Depth=1
	v_mov_b32_e32 v17, v7
	s_mov_b32 s16, 0
.LBB1_67:                               ;   Parent Loop BB1_51 Depth=1
                                        ; =>  This Inner Loop Header: Depth=2
	s_delay_alu instid0(VALU_DEP_1) | instskip(SKIP_1) | instid1(VALU_DEP_2)
	v_sub_nc_u32_e32 v18, 0, v17
	v_sub_nc_u32_e32 v21, 0, v16
	v_max_i32_e32 v18, v17, v18
	s_delay_alu instid0(VALU_DEP_2) | instskip(SKIP_2) | instid1(VALU_DEP_4)
	v_max_i32_e32 v21, v16, v21
	v_xor_b32_e32 v16, v16, v17
	v_add_nc_u32_e32 v17, -1, v17
	v_cvt_f32_u32_e32 v19, v18
	v_sub_nc_u32_e32 v20, 0, v18
	s_delay_alu instid0(VALU_DEP_4) | instskip(NEXT) | instid1(VALU_DEP_3)
	v_ashrrev_i32_e32 v16, 31, v16
	v_rcp_iflag_f32_e32 v19, v19
	s_delay_alu instid0(TRANS32_DEP_1) | instskip(NEXT) | instid1(VALU_DEP_1)
	v_mul_f32_e32 v19, 0x4f7ffffe, v19
	v_cvt_u32_f32_e32 v19, v19
	s_delay_alu instid0(VALU_DEP_1) | instskip(NEXT) | instid1(VALU_DEP_1)
	v_mul_lo_u32 v20, v20, v19
	v_mul_hi_u32 v20, v19, v20
	s_delay_alu instid0(VALU_DEP_1) | instskip(NEXT) | instid1(VALU_DEP_1)
	v_add_nc_u32_e32 v19, v19, v20
	v_mul_hi_u32 v19, v21, v19
	s_delay_alu instid0(VALU_DEP_1) | instskip(SKIP_1) | instid1(VALU_DEP_2)
	v_mul_lo_u32 v20, v19, v18
	v_add_nc_u32_e32 v22, 1, v19
	v_sub_nc_u32_e32 v20, v21, v20
	s_delay_alu instid0(VALU_DEP_1) | instskip(SKIP_2) | instid1(VALU_DEP_2)
	v_sub_nc_u32_e32 v21, v20, v18
	v_cmp_ge_u32_e32 vcc_lo, v20, v18
	s_wait_alu 0xfffd
	v_dual_cndmask_b32 v19, v19, v22 :: v_dual_cndmask_b32 v20, v20, v21
	s_delay_alu instid0(VALU_DEP_1) | instskip(NEXT) | instid1(VALU_DEP_2)
	v_add_nc_u32_e32 v21, 1, v19
	v_cmp_ge_u32_e32 vcc_lo, v20, v18
	s_wait_alu 0xfffd
	s_delay_alu instid0(VALU_DEP_2) | instskip(SKIP_1) | instid1(VALU_DEP_2)
	v_cndmask_b32_e32 v18, v19, v21, vcc_lo
	v_cmp_eq_u32_e32 vcc_lo, 0, v17
	v_xor_b32_e32 v18, v18, v16
	s_wait_alu 0xfffe
	s_or_b32 s16, vcc_lo, s16
	s_delay_alu instid0(VALU_DEP_1)
	v_sub_nc_u32_e32 v16, v18, v16
	s_wait_alu 0xfffe
	s_and_not1_b32 exec_lo, exec_lo, s16
	s_cbranch_execnz .LBB1_67
; %bb.68:                               ;   in Loop: Header=BB1_51 Depth=1
	s_or_b32 exec_lo, exec_lo, s16
.LBB1_69:                               ;   in Loop: Header=BB1_51 Depth=1
	s_wait_alu 0xfffe
	s_or_b32 exec_lo, exec_lo, s2
	v_sub_nc_u32_e32 v15, v8, v15
	v_mov_b32_e32 v8, 0
	s_mov_b32 s2, exec_lo
	s_delay_alu instid0(VALU_DEP_2)
	v_dual_mov_b32 v15, 0 :: v_dual_add_nc_u32 v16, v16, v15
	v_cmpx_lt_i32_e32 2, v6
	s_cbranch_execz .LBB1_85
; %bb.70:                               ;   in Loop: Header=BB1_51 Depth=1
	v_dual_mov_b32 v15, 0 :: v_dual_add_nc_u32 v8, -2, v6
	v_mov_b32_e32 v17, s10
	s_mov_b32 s16, 0
	s_mov_b32 s17, 0
	s_delay_alu instid0(VALU_DEP_2)
	v_mov_b32_e32 v18, v8
.LBB1_71:                               ;   Parent Loop BB1_51 Depth=1
                                        ; =>  This Loop Header: Depth=2
                                        ;       Child Loop BB1_73 Depth 3
                                        ;         Child Loop BB1_74 Depth 4
                                        ;         Child Loop BB1_76 Depth 4
                                        ;       Child Loop BB1_80 Depth 3
                                        ;       Child Loop BB1_82 Depth 3
	v_dual_mov_b32 v20, 0 :: v_dual_add_nc_u32 v7, -1, v7
	v_mov_b32_e32 v19, 0
	s_mov_b32 s18, exec_lo
	v_cmpx_lt_i32_e32 0, v16
	s_cbranch_execz .LBB1_79
; %bb.72:                               ;   in Loop: Header=BB1_71 Depth=2
	v_mov_b32_e32 v19, 0
	s_mov_b32 s20, 1
	s_mov_b32 s19, 0
.LBB1_73:                               ;   Parent Loop BB1_51 Depth=1
                                        ;     Parent Loop BB1_71 Depth=2
                                        ; =>    This Loop Header: Depth=3
                                        ;         Child Loop BB1_74 Depth 4
                                        ;         Child Loop BB1_76 Depth 4
	s_wait_alu 0xfffe
	v_subrev_nc_u32_e32 v21, s20, v17
	v_mov_b32_e32 v20, 1
	v_mov_b32_e32 v22, v18
	s_mov_b32 s21, 0
.LBB1_74:                               ;   Parent Loop BB1_51 Depth=1
                                        ;     Parent Loop BB1_71 Depth=2
                                        ;       Parent Loop BB1_73 Depth=3
                                        ; =>      This Inner Loop Header: Depth=4
	s_delay_alu instid0(VALU_DEP_1) | instskip(NEXT) | instid1(VALU_DEP_3)
	v_add_nc_u32_e32 v22, -1, v22
	v_mul_lo_u32 v20, v20, v21
	v_add_nc_u32_e32 v21, -1, v21
	s_delay_alu instid0(VALU_DEP_3)
	v_cmp_eq_u32_e32 vcc_lo, 0, v22
	s_wait_alu 0xfffe
	s_or_b32 s21, vcc_lo, s21
	s_wait_alu 0xfffe
	s_and_not1_b32 exec_lo, exec_lo, s21
	s_cbranch_execnz .LBB1_74
; %bb.75:                               ;   in Loop: Header=BB1_73 Depth=3
	s_or_b32 exec_lo, exec_lo, s21
	v_mov_b32_e32 v21, v7
	s_mov_b32 s21, 0
.LBB1_76:                               ;   Parent Loop BB1_51 Depth=1
                                        ;     Parent Loop BB1_71 Depth=2
                                        ;       Parent Loop BB1_73 Depth=3
                                        ; =>      This Inner Loop Header: Depth=4
	s_delay_alu instid0(VALU_DEP_1) | instskip(SKIP_1) | instid1(VALU_DEP_2)
	v_sub_nc_u32_e32 v22, 0, v21
	v_sub_nc_u32_e32 v25, 0, v20
	v_max_i32_e32 v22, v21, v22
	s_delay_alu instid0(VALU_DEP_2) | instskip(SKIP_2) | instid1(VALU_DEP_4)
	v_max_i32_e32 v25, v20, v25
	v_xor_b32_e32 v20, v20, v21
	v_add_nc_u32_e32 v21, -1, v21
	v_cvt_f32_u32_e32 v23, v22
	v_sub_nc_u32_e32 v24, 0, v22
	s_delay_alu instid0(VALU_DEP_4) | instskip(NEXT) | instid1(VALU_DEP_3)
	v_ashrrev_i32_e32 v20, 31, v20
	v_rcp_iflag_f32_e32 v23, v23
	s_delay_alu instid0(TRANS32_DEP_1) | instskip(NEXT) | instid1(VALU_DEP_1)
	v_mul_f32_e32 v23, 0x4f7ffffe, v23
	v_cvt_u32_f32_e32 v23, v23
	s_delay_alu instid0(VALU_DEP_1) | instskip(NEXT) | instid1(VALU_DEP_1)
	v_mul_lo_u32 v24, v24, v23
	v_mul_hi_u32 v24, v23, v24
	s_delay_alu instid0(VALU_DEP_1) | instskip(NEXT) | instid1(VALU_DEP_1)
	v_add_nc_u32_e32 v23, v23, v24
	v_mul_hi_u32 v23, v25, v23
	s_delay_alu instid0(VALU_DEP_1) | instskip(SKIP_1) | instid1(VALU_DEP_2)
	v_mul_lo_u32 v24, v23, v22
	v_add_nc_u32_e32 v26, 1, v23
	v_sub_nc_u32_e32 v24, v25, v24
	s_delay_alu instid0(VALU_DEP_1) | instskip(SKIP_2) | instid1(VALU_DEP_2)
	v_sub_nc_u32_e32 v25, v24, v22
	v_cmp_ge_u32_e32 vcc_lo, v24, v22
	s_wait_alu 0xfffd
	v_dual_cndmask_b32 v23, v23, v26 :: v_dual_cndmask_b32 v24, v24, v25
	s_delay_alu instid0(VALU_DEP_1) | instskip(NEXT) | instid1(VALU_DEP_2)
	v_add_nc_u32_e32 v25, 1, v23
	v_cmp_ge_u32_e32 vcc_lo, v24, v22
	s_wait_alu 0xfffd
	s_delay_alu instid0(VALU_DEP_2) | instskip(SKIP_1) | instid1(VALU_DEP_2)
	v_cndmask_b32_e32 v22, v23, v25, vcc_lo
	v_cmp_eq_u32_e32 vcc_lo, 0, v21
	v_xor_b32_e32 v22, v22, v20
	s_wait_alu 0xfffe
	s_or_b32 s21, vcc_lo, s21
	s_delay_alu instid0(VALU_DEP_1)
	v_sub_nc_u32_e32 v20, v22, v20
	s_wait_alu 0xfffe
	s_and_not1_b32 exec_lo, exec_lo, s21
	s_cbranch_execnz .LBB1_76
; %bb.77:                               ;   in Loop: Header=BB1_73 Depth=3
	s_or_b32 exec_lo, exec_lo, s21
	v_dual_mov_b32 v20, s20 :: v_dual_add_nc_u32 v19, v20, v19
	s_add_co_i32 s20, s20, 1
	s_delay_alu instid0(VALU_DEP_1)
	v_cmp_ge_i32_e32 vcc_lo, v19, v16
	s_or_b32 s19, vcc_lo, s19
	s_wait_alu 0xfffe
	s_and_not1_b32 exec_lo, exec_lo, s19
	s_cbranch_execnz .LBB1_73
; %bb.78:                               ;   in Loop: Header=BB1_71 Depth=2
	s_or_b32 exec_lo, exec_lo, s19
.LBB1_79:                               ;   in Loop: Header=BB1_71 Depth=2
	s_wait_alu 0xfffe
	s_or_b32 exec_lo, exec_lo, s18
	v_sub_nc_u32_e32 v17, v17, v20
	v_mov_b32_e32 v21, 1
	s_mov_b32 s18, 0
	s_mov_b32 s19, 0
.LBB1_80:                               ;   Parent Loop BB1_51 Depth=1
                                        ;     Parent Loop BB1_71 Depth=2
                                        ; =>    This Inner Loop Header: Depth=3
	s_wait_alu 0xfffe
	v_add_nc_u32_e32 v22, s19, v17
	s_add_co_i32 s19, s19, -1
	s_wait_alu 0xfffe
	v_add_nc_u32_e32 v23, s19, v18
	s_delay_alu instid0(VALU_DEP_2) | instskip(NEXT) | instid1(VALU_DEP_2)
	v_mul_lo_u32 v21, v21, v22
	v_cmp_eq_u32_e32 vcc_lo, 0, v23
	s_or_b32 s18, vcc_lo, s18
	s_wait_alu 0xfffe
	s_and_not1_b32 exec_lo, exec_lo, s18
	s_cbranch_execnz .LBB1_80
; %bb.81:                               ;   in Loop: Header=BB1_71 Depth=2
	s_or_b32 exec_lo, exec_lo, s18
	v_mov_b32_e32 v22, v7
	s_mov_b32 s18, 0
.LBB1_82:                               ;   Parent Loop BB1_51 Depth=1
                                        ;     Parent Loop BB1_71 Depth=2
                                        ; =>    This Inner Loop Header: Depth=3
	s_delay_alu instid0(VALU_DEP_1) | instskip(SKIP_1) | instid1(VALU_DEP_2)
	v_sub_nc_u32_e32 v23, 0, v22
	v_sub_nc_u32_e32 v26, 0, v21
	v_max_i32_e32 v23, v22, v23
	s_delay_alu instid0(VALU_DEP_2) | instskip(SKIP_2) | instid1(VALU_DEP_4)
	v_max_i32_e32 v26, v21, v26
	v_xor_b32_e32 v21, v21, v22
	v_add_nc_u32_e32 v22, -1, v22
	v_cvt_f32_u32_e32 v24, v23
	v_sub_nc_u32_e32 v25, 0, v23
	s_delay_alu instid0(VALU_DEP_4) | instskip(NEXT) | instid1(VALU_DEP_3)
	v_ashrrev_i32_e32 v21, 31, v21
	v_rcp_iflag_f32_e32 v24, v24
	s_delay_alu instid0(TRANS32_DEP_1) | instskip(NEXT) | instid1(VALU_DEP_1)
	v_mul_f32_e32 v24, 0x4f7ffffe, v24
	v_cvt_u32_f32_e32 v24, v24
	s_delay_alu instid0(VALU_DEP_1) | instskip(NEXT) | instid1(VALU_DEP_1)
	v_mul_lo_u32 v25, v25, v24
	v_mul_hi_u32 v25, v24, v25
	s_delay_alu instid0(VALU_DEP_1) | instskip(NEXT) | instid1(VALU_DEP_1)
	v_add_nc_u32_e32 v24, v24, v25
	v_mul_hi_u32 v24, v26, v24
	s_delay_alu instid0(VALU_DEP_1) | instskip(SKIP_1) | instid1(VALU_DEP_2)
	v_mul_lo_u32 v25, v24, v23
	v_add_nc_u32_e32 v27, 1, v24
	v_sub_nc_u32_e32 v25, v26, v25
	s_delay_alu instid0(VALU_DEP_1) | instskip(SKIP_2) | instid1(VALU_DEP_2)
	v_sub_nc_u32_e32 v26, v25, v23
	v_cmp_ge_u32_e32 vcc_lo, v25, v23
	s_wait_alu 0xfffd
	v_dual_cndmask_b32 v24, v24, v27 :: v_dual_cndmask_b32 v25, v25, v26
	s_delay_alu instid0(VALU_DEP_1) | instskip(NEXT) | instid1(VALU_DEP_2)
	v_add_nc_u32_e32 v26, 1, v24
	v_cmp_ge_u32_e32 vcc_lo, v25, v23
	s_wait_alu 0xfffd
	s_delay_alu instid0(VALU_DEP_2) | instskip(SKIP_1) | instid1(VALU_DEP_2)
	v_cndmask_b32_e32 v23, v24, v26, vcc_lo
	v_cmp_eq_u32_e32 vcc_lo, 0, v22
	v_xor_b32_e32 v23, v23, v21
	s_wait_alu 0xfffe
	s_or_b32 s18, vcc_lo, s18
	s_delay_alu instid0(VALU_DEP_1)
	v_sub_nc_u32_e32 v21, v23, v21
	s_wait_alu 0xfffe
	s_and_not1_b32 exec_lo, exec_lo, s18
	s_cbranch_execnz .LBB1_82
; %bb.83:                               ;   in Loop: Header=BB1_71 Depth=2
	s_or_b32 exec_lo, exec_lo, s18
	v_sub_nc_u32_e32 v16, v16, v19
	s_add_co_i32 s18, s17, 1
	v_add_nc_u32_e32 v15, v20, v15
	s_wait_alu 0xfffe
	v_cmp_eq_u32_e32 vcc_lo, s18, v8
	s_lshl_b32 s17, s17, 2
	v_add_nc_u32_e32 v16, v21, v16
	v_add_nc_u32_e32 v18, -1, v18
	s_wait_alu 0xfffe
	s_add_co_i32 s19, s17, 0xc0
	s_or_b32 s16, vcc_lo, s16
	s_mov_b32 s17, s18
	scratch_store_b32 off, v15, s19
	s_wait_alu 0xfffe
	s_and_not1_b32 exec_lo, exec_lo, s16
	s_cbranch_execnz .LBB1_71
; %bb.84:                               ;   in Loop: Header=BB1_51 Depth=1
	s_or_b32 exec_lo, exec_lo, s16
.LBB1_85:                               ;   in Loop: Header=BB1_51 Depth=1
	s_wait_alu 0xfffe
	s_or_b32 exec_lo, exec_lo, s2
	v_add_nc_u32_e32 v7, v15, v16
	v_lshlrev_b32_e32 v15, 2, v8
	s_mov_b32 s2, exec_lo
	scratch_store_b32 v15, v7, off offset:192
	v_cmpx_gt_u32_e32 3, v8
	s_cbranch_execz .LBB1_88
; %bb.86:                               ;   in Loop: Header=BB1_51 Depth=1
	v_max_i32_e32 v7, 2, v6
	s_mov_b32 s16, 0
	s_delay_alu instid0(VALU_DEP_1)
	v_lshl_add_u32 v6, v7, 2, s11
	v_add_nc_u32_e32 v7, -3, v7
.LBB1_87:                               ;   Parent Loop BB1_51 Depth=1
                                        ; =>  This Inner Loop Header: Depth=2
	s_delay_alu instid0(VALU_DEP_1)
	v_add_nc_u32_e32 v7, 1, v7
	scratch_store_b32 v6, v5, off
	v_add_nc_u32_e32 v6, 4, v6
	v_cmp_lt_u32_e32 vcc_lo, 1, v7
	s_wait_alu 0xfffe
	s_or_b32 s16, vcc_lo, s16
	s_wait_alu 0xfffe
	s_and_not1_b32 exec_lo, exec_lo, s16
	s_cbranch_execnz .LBB1_87
.LBB1_88:                               ;   in Loop: Header=BB1_51 Depth=1
	s_wait_alu 0xfffe
	s_or_b32 exec_lo, exec_lo, s2
.LBB1_89:                               ;   in Loop: Header=BB1_51 Depth=1
	s_wait_alu 0xfffe
	s_and_not1_saveexec_b32 s2, s3
	s_cbranch_execz .LBB1_91
; %bb.90:                               ;   in Loop: Header=BB1_51 Depth=1
	v_dual_mov_b32 v6, v5 :: v_dual_mov_b32 v7, v5
	v_mov_b32_e32 v8, v5
	scratch_store_b128 off, v[5:8], off offset:192
.LBB1_91:                               ;   in Loop: Header=BB1_51 Depth=1
	s_wait_alu 0xfffe
	s_or_b32 exec_lo, exec_lo, s2
	scratch_load_b32 v7, off, off offset:192
                                        ; implicit-def: $vgpr6
	s_mov_b32 s2, exec_lo
	s_wait_loadcnt 0x0
	v_cmpx_lt_i32_e32 -1, v7
	s_wait_alu 0xfffe
	s_xor_b32 s16, exec_lo, s2
	s_cbranch_execz .LBB1_121
; %bb.92:                               ;   in Loop: Header=BB1_51 Depth=1
	v_dual_mov_b32 v8, 1 :: v_dual_lshlrev_b32 v7, 2, v7
	v_mov_b32_e32 v15, v10
	scratch_load_b32 v6, off, off offset:196
	scratch_load_b32 v7, v7, off
	s_wait_loadcnt 0x1
	v_cmp_lt_i32_e32 vcc_lo, -1, v6
	s_wait_loadcnt 0x0
	v_cmp_ge_i32_e64 s2, s8, v7
	s_wait_alu 0xf1ff
	s_delay_alu instid0(VALU_DEP_1)
	v_add_co_ci_u32_e64 v7, null, 0, v7, s2
	scratch_store_b32 off, v7, off offset:192
	s_and_saveexec_b32 s17, vcc_lo
	s_cbranch_execz .LBB1_98
; %bb.93:                               ;   in Loop: Header=BB1_51 Depth=1
	v_dual_mov_b32 v15, v11 :: v_dual_lshlrev_b32 v6, 2, v6
	v_mov_b32_e32 v8, 2
	s_mov_b32 s18, exec_lo
	scratch_load_b32 v7, v6, off
	scratch_load_b32 v6, off, off offset:200
	s_wait_loadcnt 0x1
	v_cmp_ge_i32_e64 s2, s8, v7
	s_wait_alu 0xf1ff
	s_delay_alu instid0(VALU_DEP_1)
	v_add_co_ci_u32_e64 v7, null, 0, v7, s2
	scratch_store_b32 off, v7, off offset:196
	s_wait_loadcnt 0x0
	v_cmpx_lt_i32_e32 -1, v6
	s_cbranch_execz .LBB1_97
; %bb.94:                               ;   in Loop: Header=BB1_51 Depth=1
	v_dual_mov_b32 v8, 3 :: v_dual_lshlrev_b32 v7, 2, v6
	v_mov_b32_e32 v15, v12
	scratch_load_b32 v6, off, off offset:204
	scratch_load_b32 v7, v7, off
	s_wait_loadcnt 0x0
	v_cmp_ge_i32_e64 s3, s8, v7
	s_wait_alu 0xf1ff
	s_delay_alu instid0(VALU_DEP_1)
	v_add_co_ci_u32_e64 v7, null, 0, v7, s3
	s_mov_b32 s3, exec_lo
	scratch_store_b32 off, v7, off offset:200
	v_cmpx_lt_i32_e32 -1, v6
	s_cbranch_execz .LBB1_96
; %bb.95:                               ;   in Loop: Header=BB1_51 Depth=1
	v_dual_mov_b32 v15, v13 :: v_dual_lshlrev_b32 v6, 2, v6
	v_mov_b32_e32 v8, 4
	scratch_load_b32 v6, v6, off
	s_wait_loadcnt 0x0
	v_cmp_ge_i32_e64 s2, s8, v6
	s_wait_alu 0xf1ff
	s_delay_alu instid0(VALU_DEP_1)
	v_add_co_ci_u32_e64 v6, null, 0, v6, s2
	scratch_store_b32 off, v6, off offset:204
.LBB1_96:                               ;   in Loop: Header=BB1_51 Depth=1
	s_wait_alu 0xfffe
	s_or_b32 exec_lo, exec_lo, s3
.LBB1_97:                               ;   in Loop: Header=BB1_51 Depth=1
	s_wait_alu 0xfffe
	s_or_b32 exec_lo, exec_lo, s18
.LBB1_98:                               ;   in Loop: Header=BB1_51 Depth=1
	s_wait_alu 0xfffe
	s_or_b32 exec_lo, exec_lo, s17
	v_add_nc_u32_e32 v6, 1, v8
	v_lshl_add_u32 v7, v8, 2, s11
	s_mov_b32 s3, 0
.LBB1_99:                               ;   Parent Loop BB1_51 Depth=1
                                        ; =>  This Inner Loop Header: Depth=2
	scratch_load_b32 v16, v7, off
	v_add_nc_u32_e32 v6, -1, v6
	s_delay_alu instid0(VALU_DEP_1)
	v_cmp_gt_u32_e64 s2, 2, v6
	s_wait_alu 0xfffe
	s_or_b32 s3, s2, s3
	s_wait_loadcnt 0x0
	scratch_store_b32 v7, v16, off offset:4
	v_add_nc_u32_e32 v7, -4, v7
	s_wait_alu 0xfffe
	s_and_not1_b32 exec_lo, exec_lo, s3
	s_cbranch_execnz .LBB1_99
; %bb.100:                              ;   in Loop: Header=BB1_51 Depth=1
	s_or_b32 exec_lo, exec_lo, s3
	v_mov_b32_e32 v16, 0
	scratch_store_b32 off, v16, off offset:192
	s_and_saveexec_b32 s3, vcc_lo
	s_cbranch_execz .LBB1_108
; %bb.101:                              ;   in Loop: Header=BB1_51 Depth=1
	s_mov_b32 s18, 1
	s_mov_b32 s17, 0
	;; [unrolled: 1-line block ×3, first 2 shown]
.LBB1_102:                              ;   Parent Loop BB1_51 Depth=1
                                        ; =>  This Loop Header: Depth=2
                                        ;       Child Loop BB1_103 Depth 3
                                        ;       Child Loop BB1_105 Depth 3
	s_mov_b32 s2, 44
	s_mov_b32 s20, 1
.LBB1_103:                              ;   Parent Loop BB1_51 Depth=1
                                        ;     Parent Loop BB1_102 Depth=2
                                        ; =>    This Inner Loop Header: Depth=3
	s_wait_alu 0xfffe
	s_mul_i32 s20, s20, s2
	s_add_co_i32 s2, s2, -1
	s_wait_alu 0xfffe
	s_add_co_i32 s21, s18, s2
	s_wait_alu 0xfffe
	s_cmp_lg_u32 s21, 44
	s_cbranch_scc1 .LBB1_103
; %bb.104:                              ;   in Loop: Header=BB1_102 Depth=2
	s_mov_b32 s2, s18
.LBB1_105:                              ;   Parent Loop BB1_51 Depth=1
                                        ;     Parent Loop BB1_102 Depth=2
                                        ; =>    This Inner Loop Header: Depth=3
	s_wait_alu 0xfffe
	s_abs_i32 s21, s2
	s_abs_i32 s24, s20
	s_wait_alu 0xfffe
	s_cvt_f32_u32 s22, s21
	s_sub_co_i32 s23, 0, s21
	s_xor_b32 s20, s20, s2
	s_wait_alu 0xfffe
	s_ashr_i32 s20, s20, 31
	v_rcp_iflag_f32_e32 v6, s22
	s_delay_alu instid0(TRANS32_DEP_1) | instskip(SKIP_2) | instid1(SALU_CYCLE_2)
	v_readfirstlane_b32 s22, v6
	s_mul_f32 s22, s22, 0x4f7ffffe
	s_wait_alu 0xfffe
	s_cvt_u32_f32 s22, s22
	s_wait_alu 0xfffe
	s_delay_alu instid0(SALU_CYCLE_2)
	s_mul_i32 s23, s23, s22
	s_wait_alu 0xfffe
	s_mul_hi_u32 s23, s22, s23
	s_wait_alu 0xfffe
	s_add_co_i32 s22, s22, s23
	s_wait_alu 0xfffe
	s_mul_hi_u32 s22, s24, s22
	s_wait_alu 0xfffe
	s_mul_i32 s23, s22, s21
	s_wait_alu 0xfffe
	s_sub_co_i32 s23, s24, s23
	s_add_co_i32 s24, s22, 1
	s_wait_alu 0xfffe
	s_sub_co_i32 s25, s23, s21
	s_cmp_ge_u32 s23, s21
	s_cselect_b32 s22, s24, s22
	s_cselect_b32 s23, s25, s23
	s_wait_alu 0xfffe
	s_add_co_i32 s24, s22, 1
	s_cmp_ge_u32 s23, s21
	s_cselect_b32 s21, s24, s22
	s_add_co_i32 s2, s2, -1
	s_wait_alu 0xfffe
	s_xor_b32 s21, s21, s20
	s_wait_alu 0xfffe
	s_sub_co_i32 s20, s21, s20
	s_cmp_lg_u32 s2, 0
	s_cbranch_scc1 .LBB1_105
; %bb.106:                              ;   in Loop: Header=BB1_102 Depth=2
	s_add_co_i32 s18, s18, 1
	s_wait_alu 0xfffe
	s_add_co_i32 s19, s20, s19
	v_cmp_eq_u32_e64 s2, s18, v8
	s_wait_alu 0xfffe
	v_mov_b32_e32 v16, s19
	s_or_b32 s17, s2, s17
	s_wait_alu 0xfffe
	s_and_not1_b32 exec_lo, exec_lo, s17
	s_cbranch_execnz .LBB1_102
; %bb.107:                              ;   in Loop: Header=BB1_51 Depth=1
	s_or_b32 exec_lo, exec_lo, s17
.LBB1_108:                              ;   in Loop: Header=BB1_51 Depth=1
	s_wait_alu 0xfffe
	s_or_b32 exec_lo, exec_lo, s3
	s_and_saveexec_b32 s2, vcc_lo
	s_cbranch_execz .LBB1_120
; %bb.109:                              ;   in Loop: Header=BB1_51 Depth=1
	s_mov_b32 s17, 1
	s_mov_b32 s3, 0
	s_branch .LBB1_111
.LBB1_110:                              ;   in Loop: Header=BB1_111 Depth=2
	s_wait_alu 0xfffe
	s_or_b32 exec_lo, exec_lo, s18
	s_add_co_i32 s17, s17, 1
	s_wait_alu 0xfffe
	v_cmp_eq_u32_e32 vcc_lo, s17, v8
	s_or_b32 s3, vcc_lo, s3
	s_wait_alu 0xfffe
	s_and_not1_b32 exec_lo, exec_lo, s3
	s_cbranch_execz .LBB1_119
.LBB1_111:                              ;   Parent Loop BB1_51 Depth=1
                                        ; =>  This Loop Header: Depth=2
                                        ;       Child Loop BB1_113 Depth 3
                                        ;         Child Loop BB1_114 Depth 4
                                        ;         Child Loop BB1_116 Depth 4
	s_wait_alu 0xfffe
	s_lshl_b32 s18, s17, 2
	s_wait_alu 0xfffe
	s_addk_co_i32 s18, 0xc0
	scratch_load_b64 v[6:7], off, s18 offset:-4
	s_mov_b32 s18, exec_lo
	s_wait_loadcnt 0x0
	v_add_nc_u32_e32 v7, -1, v7
	s_delay_alu instid0(VALU_DEP_1)
	v_cmpx_lt_i32_e64 v6, v7
	s_cbranch_execz .LBB1_110
; %bb.112:                              ;   in Loop: Header=BB1_111 Depth=2
	v_subrev_nc_u32_e32 v17, s17, v8
	s_mov_b32 s19, 0
.LBB1_113:                              ;   Parent Loop BB1_51 Depth=1
                                        ;     Parent Loop BB1_111 Depth=2
                                        ; =>    This Loop Header: Depth=3
                                        ;         Child Loop BB1_114 Depth 4
                                        ;         Child Loop BB1_116 Depth 4
	v_sub_nc_u32_e32 v19, 43, v6
	v_mov_b32_e32 v18, 1
	v_mov_b32_e32 v20, v8
	s_mov_b32 s20, 0
.LBB1_114:                              ;   Parent Loop BB1_51 Depth=1
                                        ;     Parent Loop BB1_111 Depth=2
                                        ;       Parent Loop BB1_113 Depth=3
                                        ; =>      This Inner Loop Header: Depth=4
	s_delay_alu instid0(VALU_DEP_1) | instskip(NEXT) | instid1(VALU_DEP_3)
	v_add_nc_u32_e32 v20, -1, v20
	v_mul_lo_u32 v18, v18, v19
	v_add_nc_u32_e32 v19, -1, v19
	s_delay_alu instid0(VALU_DEP_3)
	v_cmp_eq_u32_e32 vcc_lo, s17, v20
	s_wait_alu 0xfffe
	s_or_b32 s20, vcc_lo, s20
	s_wait_alu 0xfffe
	s_and_not1_b32 exec_lo, exec_lo, s20
	s_cbranch_execnz .LBB1_114
; %bb.115:                              ;   in Loop: Header=BB1_113 Depth=3
	s_or_b32 exec_lo, exec_lo, s20
	v_mov_b32_e32 v19, v17
	s_mov_b32 s20, 0
.LBB1_116:                              ;   Parent Loop BB1_51 Depth=1
                                        ;     Parent Loop BB1_111 Depth=2
                                        ;       Parent Loop BB1_113 Depth=3
                                        ; =>      This Inner Loop Header: Depth=4
	s_delay_alu instid0(VALU_DEP_1) | instskip(SKIP_1) | instid1(VALU_DEP_2)
	v_sub_nc_u32_e32 v20, 0, v19
	v_sub_nc_u32_e32 v23, 0, v18
	v_max_i32_e32 v20, v19, v20
	s_delay_alu instid0(VALU_DEP_2) | instskip(SKIP_2) | instid1(VALU_DEP_4)
	v_max_i32_e32 v23, v18, v23
	v_xor_b32_e32 v18, v18, v19
	v_add_nc_u32_e32 v19, -1, v19
	v_cvt_f32_u32_e32 v21, v20
	v_sub_nc_u32_e32 v22, 0, v20
	s_delay_alu instid0(VALU_DEP_4) | instskip(NEXT) | instid1(VALU_DEP_3)
	v_ashrrev_i32_e32 v18, 31, v18
	v_rcp_iflag_f32_e32 v21, v21
	s_delay_alu instid0(TRANS32_DEP_1) | instskip(NEXT) | instid1(VALU_DEP_1)
	v_mul_f32_e32 v21, 0x4f7ffffe, v21
	v_cvt_u32_f32_e32 v21, v21
	s_delay_alu instid0(VALU_DEP_1) | instskip(NEXT) | instid1(VALU_DEP_1)
	v_mul_lo_u32 v22, v22, v21
	v_mul_hi_u32 v22, v21, v22
	s_delay_alu instid0(VALU_DEP_1) | instskip(NEXT) | instid1(VALU_DEP_1)
	v_add_nc_u32_e32 v21, v21, v22
	v_mul_hi_u32 v21, v23, v21
	s_delay_alu instid0(VALU_DEP_1) | instskip(SKIP_1) | instid1(VALU_DEP_2)
	v_mul_lo_u32 v22, v21, v20
	v_add_nc_u32_e32 v24, 1, v21
	v_sub_nc_u32_e32 v22, v23, v22
	s_delay_alu instid0(VALU_DEP_1) | instskip(SKIP_2) | instid1(VALU_DEP_2)
	v_sub_nc_u32_e32 v23, v22, v20
	v_cmp_ge_u32_e32 vcc_lo, v22, v20
	s_wait_alu 0xfffd
	v_dual_cndmask_b32 v21, v21, v24 :: v_dual_cndmask_b32 v22, v22, v23
	s_delay_alu instid0(VALU_DEP_1) | instskip(NEXT) | instid1(VALU_DEP_2)
	v_add_nc_u32_e32 v23, 1, v21
	v_cmp_ge_u32_e32 vcc_lo, v22, v20
	s_wait_alu 0xfffd
	s_delay_alu instid0(VALU_DEP_2) | instskip(SKIP_1) | instid1(VALU_DEP_2)
	v_cndmask_b32_e32 v20, v21, v23, vcc_lo
	v_cmp_eq_u32_e32 vcc_lo, 0, v19
	v_xor_b32_e32 v20, v20, v18
	s_wait_alu 0xfffe
	s_or_b32 s20, vcc_lo, s20
	s_delay_alu instid0(VALU_DEP_1)
	v_sub_nc_u32_e32 v18, v20, v18
	s_wait_alu 0xfffe
	s_and_not1_b32 exec_lo, exec_lo, s20
	s_cbranch_execnz .LBB1_116
; %bb.117:                              ;   in Loop: Header=BB1_113 Depth=3
	s_or_b32 exec_lo, exec_lo, s20
	v_add_nc_u32_e32 v6, 1, v6
	v_add_nc_u32_e32 v16, v18, v16
	s_delay_alu instid0(VALU_DEP_2)
	v_cmp_ge_i32_e32 vcc_lo, v6, v7
	s_or_b32 s19, vcc_lo, s19
	s_wait_alu 0xfffe
	s_and_not1_b32 exec_lo, exec_lo, s19
	s_cbranch_execnz .LBB1_113
; %bb.118:                              ;   in Loop: Header=BB1_111 Depth=2
	s_or_b32 exec_lo, exec_lo, s19
	s_branch .LBB1_110
.LBB1_119:                              ;   in Loop: Header=BB1_51 Depth=1
	s_or_b32 exec_lo, exec_lo, s3
.LBB1_120:                              ;   in Loop: Header=BB1_51 Depth=1
	s_wait_alu 0xfffe
	s_or_b32 exec_lo, exec_lo, s2
	scratch_load_b64 v[6:7], v15, off offset:-4
	s_wait_loadcnt 0x0
	v_add_nc_u32_e32 v7, v7, v16
	s_delay_alu instid0(VALU_DEP_1)
	v_sub_nc_u32_e32 v6, v7, v6
.LBB1_121:                              ;   in Loop: Header=BB1_51 Depth=1
	s_wait_alu 0xfffe
	s_and_not1_saveexec_b32 s2, s16
	s_cbranch_execz .LBB1_49
; %bb.122:                              ;   in Loop: Header=BB1_51 Depth=1
	v_mov_b32_e32 v6, 0
	scratch_store_b32 off, v6, off offset:192
	s_branch .LBB1_49
.LBB1_123:
	s_or_b32 exec_lo, exec_lo, s12
	s_branch .LBB1_168
.LBB1_124:
	v_mov_b32_e32 v1, 2
	s_lshl_b32 s2, s10, 2
	s_add_co_i32 s10, s10, 1
	scratch_store_b32 off, v1, s2
	s_load_u8 s2, s[6:7], 0x3
	s_wait_kmcnt 0x0
	s_cmp_eq_u32 s2, 0
	s_cbranch_scc1 .LBB1_6
.LBB1_125:
	v_mov_b32_e32 v1, 3
	s_lshl_b32 s2, s10, 2
	s_add_co_i32 s10, s10, 1
	scratch_store_b32 off, v1, s2
	s_load_u8 s2, s[6:7], 0x4
	s_wait_kmcnt 0x0
	s_cmp_eq_u32 s2, 0
	s_cbranch_scc1 .LBB1_7
.LBB1_126:
	v_mov_b32_e32 v1, 4
	s_lshl_b32 s2, s10, 2
	s_add_co_i32 s10, s10, 1
	scratch_store_b32 off, v1, s2
	s_load_u8 s2, s[6:7], 0x5
	s_wait_kmcnt 0x0
	s_cmp_eq_u32 s2, 0
	s_cbranch_scc1 .LBB1_8
.LBB1_127:
	v_mov_b32_e32 v1, 5
	s_lshl_b32 s2, s10, 2
	s_add_co_i32 s10, s10, 1
	scratch_store_b32 off, v1, s2
	s_load_u8 s2, s[6:7], 0x6
	s_wait_kmcnt 0x0
	s_cmp_eq_u32 s2, 0
	s_cbranch_scc1 .LBB1_9
.LBB1_128:
	v_mov_b32_e32 v1, 6
	s_lshl_b32 s2, s10, 2
	s_add_co_i32 s10, s10, 1
	scratch_store_b32 off, v1, s2
	s_load_u8 s2, s[6:7], 0x7
	s_wait_kmcnt 0x0
	s_cmp_eq_u32 s2, 0
	s_cbranch_scc1 .LBB1_10
.LBB1_129:
	v_mov_b32_e32 v1, 7
	s_lshl_b32 s2, s10, 2
	s_add_co_i32 s10, s10, 1
	scratch_store_b32 off, v1, s2
	s_load_u8 s2, s[6:7], 0x8
	s_wait_kmcnt 0x0
	s_cmp_eq_u32 s2, 0
	s_cbranch_scc1 .LBB1_11
.LBB1_130:
	v_mov_b32_e32 v1, 8
	s_lshl_b32 s2, s10, 2
	s_add_co_i32 s10, s10, 1
	scratch_store_b32 off, v1, s2
	s_load_u8 s2, s[6:7], 0x9
	s_wait_kmcnt 0x0
	s_cmp_eq_u32 s2, 0
	s_cbranch_scc1 .LBB1_12
.LBB1_131:
	v_mov_b32_e32 v1, 9
	s_lshl_b32 s2, s10, 2
	s_add_co_i32 s10, s10, 1
	scratch_store_b32 off, v1, s2
	s_load_u8 s2, s[6:7], 0xa
	s_wait_kmcnt 0x0
	s_cmp_eq_u32 s2, 0
	s_cbranch_scc1 .LBB1_13
.LBB1_132:
	v_mov_b32_e32 v1, 10
	s_lshl_b32 s2, s10, 2
	s_add_co_i32 s10, s10, 1
	scratch_store_b32 off, v1, s2
	s_load_u8 s2, s[6:7], 0xb
	s_wait_kmcnt 0x0
	s_cmp_eq_u32 s2, 0
	s_cbranch_scc1 .LBB1_14
.LBB1_133:
	v_mov_b32_e32 v1, 11
	s_lshl_b32 s2, s10, 2
	s_add_co_i32 s10, s10, 1
	scratch_store_b32 off, v1, s2
	s_load_u8 s2, s[6:7], 0xc
	s_wait_kmcnt 0x0
	s_cmp_eq_u32 s2, 0
	s_cbranch_scc1 .LBB1_15
.LBB1_134:
	v_mov_b32_e32 v1, 12
	s_lshl_b32 s2, s10, 2
	s_add_co_i32 s10, s10, 1
	scratch_store_b32 off, v1, s2
	s_load_u8 s2, s[6:7], 0xd
	s_wait_kmcnt 0x0
	s_cmp_eq_u32 s2, 0
	s_cbranch_scc1 .LBB1_16
.LBB1_135:
	v_mov_b32_e32 v1, 13
	s_lshl_b32 s2, s10, 2
	s_add_co_i32 s10, s10, 1
	scratch_store_b32 off, v1, s2
	s_load_u8 s2, s[6:7], 0xe
	s_wait_kmcnt 0x0
	s_cmp_eq_u32 s2, 0
	s_cbranch_scc1 .LBB1_17
.LBB1_136:
	v_mov_b32_e32 v1, 14
	s_lshl_b32 s2, s10, 2
	s_add_co_i32 s10, s10, 1
	scratch_store_b32 off, v1, s2
	s_load_u8 s2, s[6:7], 0xf
	s_wait_kmcnt 0x0
	s_cmp_eq_u32 s2, 0
	s_cbranch_scc1 .LBB1_18
.LBB1_137:
	v_mov_b32_e32 v1, 15
	s_lshl_b32 s2, s10, 2
	s_add_co_i32 s10, s10, 1
	scratch_store_b32 off, v1, s2
	s_load_u8 s2, s[6:7], 0x10
	s_wait_kmcnt 0x0
	s_cmp_eq_u32 s2, 0
	s_cbranch_scc1 .LBB1_19
.LBB1_138:
	v_mov_b32_e32 v1, 16
	s_lshl_b32 s2, s10, 2
	s_add_co_i32 s10, s10, 1
	scratch_store_b32 off, v1, s2
	s_load_u8 s2, s[6:7], 0x11
	s_wait_kmcnt 0x0
	s_cmp_eq_u32 s2, 0
	s_cbranch_scc1 .LBB1_20
.LBB1_139:
	v_mov_b32_e32 v1, 17
	s_lshl_b32 s2, s10, 2
	s_add_co_i32 s10, s10, 1
	scratch_store_b32 off, v1, s2
	s_load_u8 s2, s[6:7], 0x12
	s_wait_kmcnt 0x0
	s_cmp_eq_u32 s2, 0
	s_cbranch_scc1 .LBB1_21
.LBB1_140:
	v_mov_b32_e32 v1, 18
	s_lshl_b32 s2, s10, 2
	s_add_co_i32 s10, s10, 1
	scratch_store_b32 off, v1, s2
	s_load_u8 s2, s[6:7], 0x13
	s_wait_kmcnt 0x0
	s_cmp_eq_u32 s2, 0
	s_cbranch_scc1 .LBB1_22
.LBB1_141:
	v_mov_b32_e32 v1, 19
	s_lshl_b32 s2, s10, 2
	s_add_co_i32 s10, s10, 1
	scratch_store_b32 off, v1, s2
	s_load_u8 s2, s[6:7], 0x14
	s_wait_kmcnt 0x0
	s_cmp_eq_u32 s2, 0
	s_cbranch_scc1 .LBB1_23
.LBB1_142:
	v_mov_b32_e32 v1, 20
	s_lshl_b32 s2, s10, 2
	s_add_co_i32 s10, s10, 1
	scratch_store_b32 off, v1, s2
	s_load_u8 s2, s[6:7], 0x15
	s_wait_kmcnt 0x0
	s_cmp_eq_u32 s2, 0
	s_cbranch_scc1 .LBB1_24
.LBB1_143:
	v_mov_b32_e32 v1, 21
	s_lshl_b32 s2, s10, 2
	s_add_co_i32 s10, s10, 1
	scratch_store_b32 off, v1, s2
	s_load_u8 s2, s[6:7], 0x16
	s_wait_kmcnt 0x0
	s_cmp_eq_u32 s2, 0
	s_cbranch_scc1 .LBB1_25
.LBB1_144:
	v_mov_b32_e32 v1, 22
	s_lshl_b32 s2, s10, 2
	s_add_co_i32 s10, s10, 1
	scratch_store_b32 off, v1, s2
	s_load_u8 s2, s[6:7], 0x17
	s_wait_kmcnt 0x0
	s_cmp_eq_u32 s2, 0
	s_cbranch_scc1 .LBB1_26
.LBB1_145:
	v_mov_b32_e32 v1, 23
	s_lshl_b32 s2, s10, 2
	s_add_co_i32 s10, s10, 1
	scratch_store_b32 off, v1, s2
	s_load_u8 s2, s[6:7], 0x18
	s_wait_kmcnt 0x0
	s_cmp_eq_u32 s2, 0
	s_cbranch_scc1 .LBB1_27
.LBB1_146:
	v_mov_b32_e32 v1, 24
	s_lshl_b32 s2, s10, 2
	s_add_co_i32 s10, s10, 1
	scratch_store_b32 off, v1, s2
	s_load_u8 s2, s[6:7], 0x19
	s_wait_kmcnt 0x0
	s_cmp_eq_u32 s2, 0
	s_cbranch_scc1 .LBB1_28
.LBB1_147:
	v_mov_b32_e32 v1, 25
	s_lshl_b32 s2, s10, 2
	s_add_co_i32 s10, s10, 1
	scratch_store_b32 off, v1, s2
	s_load_u8 s2, s[6:7], 0x1a
	s_wait_kmcnt 0x0
	s_cmp_eq_u32 s2, 0
	s_cbranch_scc1 .LBB1_29
.LBB1_148:
	v_mov_b32_e32 v1, 26
	s_lshl_b32 s2, s10, 2
	s_add_co_i32 s10, s10, 1
	scratch_store_b32 off, v1, s2
	s_load_u8 s2, s[6:7], 0x1b
	s_wait_kmcnt 0x0
	s_cmp_eq_u32 s2, 0
	s_cbranch_scc1 .LBB1_30
.LBB1_149:
	v_mov_b32_e32 v1, 27
	s_lshl_b32 s2, s10, 2
	s_add_co_i32 s10, s10, 1
	scratch_store_b32 off, v1, s2
	s_load_u8 s2, s[6:7], 0x1c
	s_wait_kmcnt 0x0
	s_cmp_eq_u32 s2, 0
	s_cbranch_scc1 .LBB1_31
.LBB1_150:
	v_mov_b32_e32 v1, 28
	s_lshl_b32 s2, s10, 2
	s_add_co_i32 s10, s10, 1
	scratch_store_b32 off, v1, s2
	s_load_u8 s2, s[6:7], 0x1d
	s_wait_kmcnt 0x0
	s_cmp_eq_u32 s2, 0
	s_cbranch_scc1 .LBB1_32
.LBB1_151:
	v_mov_b32_e32 v1, 29
	s_lshl_b32 s2, s10, 2
	s_add_co_i32 s10, s10, 1
	scratch_store_b32 off, v1, s2
	s_load_u8 s2, s[6:7], 0x1e
	s_wait_kmcnt 0x0
	s_cmp_eq_u32 s2, 0
	s_cbranch_scc1 .LBB1_33
.LBB1_152:
	v_mov_b32_e32 v1, 30
	s_lshl_b32 s2, s10, 2
	s_add_co_i32 s10, s10, 1
	scratch_store_b32 off, v1, s2
	s_load_u8 s2, s[6:7], 0x1f
	s_wait_kmcnt 0x0
	s_cmp_eq_u32 s2, 0
	s_cbranch_scc1 .LBB1_34
.LBB1_153:
	v_mov_b32_e32 v1, 31
	s_lshl_b32 s2, s10, 2
	s_add_co_i32 s10, s10, 1
	scratch_store_b32 off, v1, s2
	s_load_u8 s2, s[6:7], 0x20
	s_wait_kmcnt 0x0
	s_cmp_eq_u32 s2, 0
	s_cbranch_scc1 .LBB1_35
.LBB1_154:
	v_mov_b32_e32 v1, 32
	s_lshl_b32 s2, s10, 2
	s_add_co_i32 s10, s10, 1
	scratch_store_b32 off, v1, s2
	s_load_u8 s2, s[6:7], 0x21
	s_wait_kmcnt 0x0
	s_cmp_eq_u32 s2, 0
	s_cbranch_scc1 .LBB1_36
.LBB1_155:
	v_mov_b32_e32 v1, 33
	s_lshl_b32 s2, s10, 2
	s_add_co_i32 s10, s10, 1
	scratch_store_b32 off, v1, s2
	s_load_u8 s2, s[6:7], 0x22
	s_wait_kmcnt 0x0
	s_cmp_eq_u32 s2, 0
	s_cbranch_scc1 .LBB1_37
.LBB1_156:
	v_mov_b32_e32 v1, 34
	s_lshl_b32 s2, s10, 2
	s_add_co_i32 s10, s10, 1
	scratch_store_b32 off, v1, s2
	s_load_u8 s2, s[6:7], 0x23
	s_wait_kmcnt 0x0
	s_cmp_eq_u32 s2, 0
	s_cbranch_scc1 .LBB1_38
.LBB1_157:
	v_mov_b32_e32 v1, 35
	s_lshl_b32 s2, s10, 2
	s_add_co_i32 s10, s10, 1
	scratch_store_b32 off, v1, s2
	s_load_u8 s2, s[6:7], 0x24
	s_wait_kmcnt 0x0
	s_cmp_eq_u32 s2, 0
	s_cbranch_scc1 .LBB1_39
.LBB1_158:
	v_mov_b32_e32 v1, 36
	s_lshl_b32 s2, s10, 2
	s_add_co_i32 s10, s10, 1
	scratch_store_b32 off, v1, s2
	s_load_u8 s2, s[6:7], 0x25
	s_wait_kmcnt 0x0
	s_cmp_eq_u32 s2, 0
	s_cbranch_scc1 .LBB1_40
.LBB1_159:
	v_mov_b32_e32 v1, 37
	s_lshl_b32 s2, s10, 2
	s_add_co_i32 s10, s10, 1
	scratch_store_b32 off, v1, s2
	s_load_u8 s2, s[6:7], 0x26
	s_wait_kmcnt 0x0
	s_cmp_eq_u32 s2, 0
	s_cbranch_scc1 .LBB1_41
.LBB1_160:
	v_mov_b32_e32 v1, 38
	s_lshl_b32 s2, s10, 2
	s_add_co_i32 s10, s10, 1
	scratch_store_b32 off, v1, s2
	s_load_u8 s2, s[6:7], 0x27
	s_wait_kmcnt 0x0
	s_cmp_eq_u32 s2, 0
	s_cbranch_scc1 .LBB1_42
.LBB1_161:
	v_mov_b32_e32 v1, 39
	s_lshl_b32 s2, s10, 2
	s_add_co_i32 s10, s10, 1
	scratch_store_b32 off, v1, s2
	s_load_u8 s2, s[6:7], 0x28
	s_wait_kmcnt 0x0
	s_cmp_eq_u32 s2, 0
	s_cbranch_scc1 .LBB1_43
.LBB1_162:
	v_mov_b32_e32 v1, 40
	s_lshl_b32 s2, s10, 2
	s_add_co_i32 s10, s10, 1
	scratch_store_b32 off, v1, s2
	s_load_u8 s2, s[6:7], 0x29
	s_wait_kmcnt 0x0
	s_cmp_eq_u32 s2, 0
	s_cbranch_scc1 .LBB1_44
.LBB1_163:
	v_mov_b32_e32 v1, 41
	s_lshl_b32 s2, s10, 2
	s_add_co_i32 s10, s10, 1
	scratch_store_b32 off, v1, s2
	s_load_u8 s2, s[6:7], 0x2a
	s_wait_kmcnt 0x0
	s_cmp_eq_u32 s2, 0
	s_cbranch_scc1 .LBB1_45
.LBB1_164:
	v_mov_b32_e32 v1, 42
	s_lshl_b32 s2, s10, 2
	s_add_co_i32 s10, s10, 1
	scratch_store_b32 off, v1, s2
	s_load_u8 s2, s[6:7], 0x2b
	s_wait_kmcnt 0x0
	s_cmp_eq_u32 s2, 0
	s_cbranch_scc1 .LBB1_46
.LBB1_165:
	v_mov_b32_e32 v1, 43
	s_lshl_b32 s2, s10, 2
	s_add_co_i32 s10, s10, 1
	scratch_store_b32 off, v1, s2
	s_load_u8 s2, s[6:7], 0x2c
	s_wait_kmcnt 0x0
	s_cmp_eq_u32 s2, 0
	s_cbranch_scc1 .LBB1_47
.LBB1_166:
	v_mov_b32_e32 v1, 44
	s_lshl_b32 s2, s10, 2
	s_add_co_i32 s10, s10, 1
	scratch_store_b32 off, v1, s2
	s_load_b64 s[6:7], s[0:1], 0x0
	s_wait_kmcnt 0x0
	s_cmp_gt_i32 s6, 0
	s_cbranch_scc1 .LBB1_48
.LBB1_167:
	v_dual_mov_b32 v9, 0xd8635fa9 :: v_dual_mov_b32 v4, 0
	v_dual_mov_b32 v3, 0 :: v_dual_mov_b32 v2, 0
	v_mov_b32_e32 v1, 0
.LBB1_168:
	v_lshl_add_u32 v8, v0, 2, 0
	v_cvt_f32_u32_e32 v7, v0
	s_mov_b32 s4, 0
	s_mov_b32 s5, exec_lo
	ds_store_b32 v8, v9
	s_wait_storecnt_dscnt 0x0
	s_barrier_signal -1
	s_barrier_wait -1
	global_inv scope:SCOPE_SE
	v_cmpx_gt_u32_e32 0x80, v0
	s_cbranch_execz .LBB1_173
; %bb.169:
	ds_load_2addr_stride64_b32 v[5:6], v8 offset1:2
	s_wait_dscnt 0x0
	v_cmp_ngt_f32_e64 s2, v6, v5
	v_cmp_ngt_f32_e64 s3, 0, v6
	v_cmp_gt_f32_e32 vcc_lo, 0, v6
	s_or_b32 s3, s3, s2
	s_mov_b32 s2, -1
	s_wait_alu 0xfffe
	s_and_saveexec_b32 s6, s3
	s_cbranch_execnz .LBB1_216
; %bb.170:
	s_wait_alu 0xfffe
	s_or_b32 exec_lo, exec_lo, s6
	v_mov_b32_e32 v5, v7
	s_and_saveexec_b32 s3, s2
	s_cbranch_execnz .LBB1_221
.LBB1_171:
	s_wait_alu 0xfffe
	s_or_b32 exec_lo, exec_lo, s3
	s_delay_alu instid0(SALU_CYCLE_1)
	s_and_b32 exec_lo, exec_lo, s4
.LBB1_172:
	ds_store_b32 v8, v5 offset:512
.LBB1_173:
	s_wait_alu 0xfffe
	s_or_b32 exec_lo, exec_lo, s5
	s_delay_alu instid0(SALU_CYCLE_1)
	s_mov_b32 s5, exec_lo
	s_wait_loadcnt_dscnt 0x0
	s_barrier_signal -1
	s_barrier_wait -1
	global_inv scope:SCOPE_SE
	v_cmpx_gt_u32_e32 64, v0
	s_cbranch_execz .LBB1_178
; %bb.174:
	ds_load_2addr_stride64_b32 v[5:6], v8 offset1:1
	s_mov_b32 s4, 0
	s_wait_dscnt 0x0
	v_cmp_ngt_f32_e64 s2, v6, v5
	v_cmp_ngt_f32_e64 s3, 0, v6
	v_cmp_gt_f32_e32 vcc_lo, 0, v6
	s_or_b32 s3, s3, s2
	s_mov_b32 s2, -1
	s_wait_alu 0xfffe
	s_and_saveexec_b32 s6, s3
	s_cbranch_execnz .LBB1_222
; %bb.175:
	s_wait_alu 0xfffe
	s_or_b32 exec_lo, exec_lo, s6
	v_mov_b32_e32 v5, v7
	s_and_saveexec_b32 s3, s2
	s_cbranch_execnz .LBB1_227
.LBB1_176:
	s_wait_alu 0xfffe
	s_or_b32 exec_lo, exec_lo, s3
	s_delay_alu instid0(SALU_CYCLE_1)
	s_and_b32 exec_lo, exec_lo, s4
.LBB1_177:
	ds_store_b32 v8, v5 offset:256
.LBB1_178:
	s_wait_alu 0xfffe
	s_or_b32 exec_lo, exec_lo, s5
	s_delay_alu instid0(SALU_CYCLE_1)
	s_mov_b32 s5, exec_lo
	s_wait_loadcnt_dscnt 0x0
	s_barrier_signal -1
	s_barrier_wait -1
	global_inv scope:SCOPE_SE
	v_cmpx_gt_u32_e32 32, v0
	s_cbranch_execz .LBB1_183
; %bb.179:
	ds_load_2addr_b32 v[5:6], v8 offset1:32
	s_mov_b32 s4, 0
	s_wait_dscnt 0x0
	v_cmp_ngt_f32_e64 s2, v6, v5
	v_cmp_ngt_f32_e64 s3, 0, v6
	v_cmp_gt_f32_e32 vcc_lo, 0, v6
	s_or_b32 s3, s3, s2
	s_mov_b32 s2, -1
	s_wait_alu 0xfffe
	s_and_saveexec_b32 s6, s3
	s_cbranch_execnz .LBB1_228
; %bb.180:
	s_wait_alu 0xfffe
	s_or_b32 exec_lo, exec_lo, s6
	v_mov_b32_e32 v5, v7
	s_and_saveexec_b32 s3, s2
	s_cbranch_execnz .LBB1_233
.LBB1_181:
	s_wait_alu 0xfffe
	s_or_b32 exec_lo, exec_lo, s3
	s_delay_alu instid0(SALU_CYCLE_1)
	s_and_b32 exec_lo, exec_lo, s4
.LBB1_182:
	ds_store_b32 v8, v5 offset:128
.LBB1_183:
	s_wait_alu 0xfffe
	s_or_b32 exec_lo, exec_lo, s5
	s_delay_alu instid0(SALU_CYCLE_1)
	s_mov_b32 s5, exec_lo
	s_wait_loadcnt_dscnt 0x0
	s_barrier_signal -1
	s_barrier_wait -1
	global_inv scope:SCOPE_SE
	v_cmpx_gt_u32_e32 16, v0
	s_cbranch_execz .LBB1_188
; %bb.184:
	ds_load_2addr_b32 v[5:6], v8 offset1:16
	s_mov_b32 s4, 0
	s_wait_dscnt 0x0
	v_cmp_ngt_f32_e64 s2, v6, v5
	v_cmp_ngt_f32_e64 s3, 0, v6
	v_cmp_gt_f32_e32 vcc_lo, 0, v6
	s_or_b32 s3, s3, s2
	s_mov_b32 s2, -1
	s_wait_alu 0xfffe
	s_and_saveexec_b32 s6, s3
	s_cbranch_execnz .LBB1_234
; %bb.185:
	s_wait_alu 0xfffe
	s_or_b32 exec_lo, exec_lo, s6
	v_mov_b32_e32 v5, v7
	s_and_saveexec_b32 s3, s2
	s_cbranch_execnz .LBB1_239
.LBB1_186:
	s_wait_alu 0xfffe
	s_or_b32 exec_lo, exec_lo, s3
	s_delay_alu instid0(SALU_CYCLE_1)
	s_and_b32 exec_lo, exec_lo, s4
.LBB1_187:
	ds_store_b32 v8, v5 offset:64
.LBB1_188:
	s_wait_alu 0xfffe
	s_or_b32 exec_lo, exec_lo, s5
	s_delay_alu instid0(SALU_CYCLE_1)
	s_mov_b32 s5, exec_lo
	s_wait_loadcnt_dscnt 0x0
	s_barrier_signal -1
	s_barrier_wait -1
	global_inv scope:SCOPE_SE
	v_cmpx_gt_u32_e32 8, v0
	s_cbranch_execz .LBB1_193
; %bb.189:
	ds_load_2addr_b32 v[5:6], v8 offset1:8
	s_mov_b32 s4, 0
	s_wait_dscnt 0x0
	v_cmp_ngt_f32_e64 s2, v6, v5
	v_cmp_ngt_f32_e64 s3, 0, v6
	v_cmp_gt_f32_e32 vcc_lo, 0, v6
	s_or_b32 s3, s3, s2
	s_mov_b32 s2, -1
	s_wait_alu 0xfffe
	s_and_saveexec_b32 s6, s3
	s_cbranch_execnz .LBB1_240
; %bb.190:
	s_wait_alu 0xfffe
	s_or_b32 exec_lo, exec_lo, s6
	v_mov_b32_e32 v5, v7
	s_and_saveexec_b32 s3, s2
	s_cbranch_execnz .LBB1_245
.LBB1_191:
	s_wait_alu 0xfffe
	s_or_b32 exec_lo, exec_lo, s3
	s_delay_alu instid0(SALU_CYCLE_1)
	s_and_b32 exec_lo, exec_lo, s4
.LBB1_192:
	ds_store_b32 v8, v5 offset:32
.LBB1_193:
	s_wait_alu 0xfffe
	s_or_b32 exec_lo, exec_lo, s5
	s_delay_alu instid0(SALU_CYCLE_1)
	s_mov_b32 s5, exec_lo
	s_wait_loadcnt_dscnt 0x0
	s_barrier_signal -1
	s_barrier_wait -1
	global_inv scope:SCOPE_SE
	v_cmpx_gt_u32_e32 4, v0
	s_cbranch_execz .LBB1_198
; %bb.194:
	ds_load_2addr_b32 v[5:6], v8 offset1:4
	s_mov_b32 s4, 0
	s_wait_dscnt 0x0
	v_cmp_ngt_f32_e64 s2, v6, v5
	v_cmp_ngt_f32_e64 s3, 0, v6
	v_cmp_gt_f32_e32 vcc_lo, 0, v6
	s_or_b32 s3, s3, s2
	s_mov_b32 s2, -1
	s_wait_alu 0xfffe
	s_and_saveexec_b32 s6, s3
	s_cbranch_execnz .LBB1_246
; %bb.195:
	s_wait_alu 0xfffe
	s_or_b32 exec_lo, exec_lo, s6
	v_mov_b32_e32 v5, v7
	s_and_saveexec_b32 s3, s2
	s_cbranch_execnz .LBB1_251
.LBB1_196:
	s_wait_alu 0xfffe
	s_or_b32 exec_lo, exec_lo, s3
	s_delay_alu instid0(SALU_CYCLE_1)
	s_and_b32 exec_lo, exec_lo, s4
.LBB1_197:
	ds_store_b32 v8, v5 offset:16
.LBB1_198:
	s_wait_alu 0xfffe
	s_or_b32 exec_lo, exec_lo, s5
	s_delay_alu instid0(SALU_CYCLE_1)
	s_mov_b32 s5, exec_lo
	s_wait_loadcnt_dscnt 0x0
	s_barrier_signal -1
	s_barrier_wait -1
	global_inv scope:SCOPE_SE
	v_cmpx_gt_u32_e32 2, v0
	s_cbranch_execz .LBB1_203
; %bb.199:
	ds_load_2addr_b32 v[5:6], v8 offset1:2
	s_mov_b32 s4, 0
	s_wait_dscnt 0x0
	v_cmp_ngt_f32_e64 s2, v6, v5
	v_cmp_ngt_f32_e64 s3, 0, v6
	v_cmp_gt_f32_e32 vcc_lo, 0, v6
	s_or_b32 s3, s3, s2
	s_mov_b32 s2, -1
	s_wait_alu 0xfffe
	s_and_saveexec_b32 s6, s3
	s_cbranch_execnz .LBB1_252
; %bb.200:
	s_wait_alu 0xfffe
	s_or_b32 exec_lo, exec_lo, s6
	v_mov_b32_e32 v5, v7
	s_and_saveexec_b32 s3, s2
	s_cbranch_execnz .LBB1_257
.LBB1_201:
	s_wait_alu 0xfffe
	s_or_b32 exec_lo, exec_lo, s3
	s_delay_alu instid0(SALU_CYCLE_1)
	s_and_b32 exec_lo, exec_lo, s4
.LBB1_202:
	ds_store_b32 v8, v5 offset:8
.LBB1_203:
	s_wait_alu 0xfffe
	s_or_b32 exec_lo, exec_lo, s5
	v_cmp_eq_u32_e32 vcc_lo, 0, v0
	s_wait_loadcnt_dscnt 0x0
	s_barrier_signal -1
	s_barrier_wait -1
	global_inv scope:SCOPE_SE
	s_and_saveexec_b32 s5, vcc_lo
	s_cbranch_execz .LBB1_208
; %bb.204:
	v_mov_b32_e32 v5, 0
	s_mov_b32 s3, 0
	ds_load_b32 v5, v5 offset:4
	ds_load_b32 v6, v8
	s_wait_dscnt 0x1
	v_readfirstlane_b32 s2, v5
	s_cmp_lt_f32 s2, 0
	s_cselect_b32 s7, -1, 0
	s_cmp_nlt_f32 s2, 0
	s_wait_dscnt 0x0
	v_cmp_ngt_f32_e64 s2, v5, v6
	s_cselect_b32 s4, -1, 0
	s_wait_alu 0xfffe
	s_or_b32 s4, s4, s2
	s_mov_b32 s2, -1
	s_wait_alu 0xfffe
	s_and_saveexec_b32 s6, s4
	s_cbranch_execnz .LBB1_258
; %bb.205:
	s_wait_alu 0xfffe
	s_or_b32 exec_lo, exec_lo, s6
	s_and_saveexec_b32 s4, s2
	s_cbranch_execnz .LBB1_263
.LBB1_206:
	s_wait_alu 0xfffe
	s_or_b32 exec_lo, exec_lo, s4
	s_delay_alu instid0(SALU_CYCLE_1)
	s_and_b32 exec_lo, exec_lo, s3
.LBB1_207:
	v_mov_b32_e32 v5, 0
	ds_store_b32 v5, v7 offset:4
.LBB1_208:
	s_wait_alu 0xfffe
	s_or_b32 exec_lo, exec_lo, s5
	s_load_b128 s[0:3], s[0:1], 0x20
	s_wait_loadcnt_dscnt 0x0
	s_barrier_signal -1
	s_barrier_wait -1
	global_inv scope:SCOPE_SE
	s_and_saveexec_b32 s4, vcc_lo
	s_cbranch_execz .LBB1_213
; %bb.209:
	v_mov_b32_e32 v8, 0
	s_mov_b32 s6, ttmp9
	s_mov_b32 s7, 0
	s_wait_alu 0xfffe
	s_lshl_b64 s[6:7], s[6:7], 2
	ds_load_2addr_b32 v[6:7], v8 offset1:1
	s_wait_kmcnt 0x0
	s_wait_alu 0xfffe
	s_add_nc_u64 s[0:1], s[0:1], s[6:7]
	s_wait_dscnt 0x0
	v_cvt_i32_f32_e32 v5, v7
	global_store_b32 v8, v6, s[0:1]
	v_cmp_lt_u32_e32 vcc_lo, 0x7f, v5
	s_cbranch_vccnz .LBB1_212
; %bb.210:
	s_mov_b32 s0, 1
.LBB1_211:                              ; =>This Inner Loop Header: Depth=1
	s_wait_alu 0xfffe
	s_cvt_f32_u32 s1, s0
	v_lshlrev_b32_e32 v5, 2, v5
	s_wait_alu 0xfffe
	s_delay_alu instid0(SALU_CYCLE_1) | instskip(NEXT) | instid1(VALU_DEP_1)
	s_mul_f32 s5, s1, 0x3f317218
	v_add_nc_u32_e32 v5, 0, v5
	s_wait_alu 0xfffe
	s_delay_alu instid0(SALU_CYCLE_1) | instskip(SKIP_4) | instid1(SALU_CYCLE_2)
	s_xor_b32 s6, s5, 0x80000000
	s_cmp_neq_f32 s5, 0x7f800000
	s_wait_alu 0xfffe
	s_fmamk_f32 s6, s1, 0x3f317218, s6
	s_wait_alu 0xfffe
	s_fmamk_f32 s1, s1, 0xb102e308, s6
	s_wait_alu 0xfffe
	s_delay_alu instid0(SALU_CYCLE_2) | instskip(SKIP_1) | instid1(SALU_CYCLE_2)
	s_add_f32 s6, s5, s1
	s_wait_alu 0xfffe
	s_sub_f32 s5, s6, s5
	s_cselect_b32 s6, s6, 0x7f800000
	s_wait_alu 0xfffe
	s_and_b32 s7, s6, 0x7fffffff
	s_sub_f32 s1, s1, s5
	s_wait_alu 0xfffe
	s_cmp_neq_f32 s7, 0x7f800000
	s_delay_alu instid0(SALU_CYCLE_1)
	s_cselect_b32 s1, s1, 0
	s_cmp_eq_f32 s6, 0x42b17218
	s_cselect_b32 s5, 0x37000000, 0
	s_wait_alu 0xfffe
	s_sub_f32 s6, s6, s5
	s_add_f32 s1, s5, s1
	s_wait_alu 0xfffe
	s_delay_alu instid0(SALU_CYCLE_1) | instskip(SKIP_1) | instid1(SALU_CYCLE_2)
	s_mul_f32 s7, s6, 0x3fb8aa3b
	s_wait_alu 0xfffe
	s_xor_b32 s8, s7, 0x80000000
	s_rndne_f32 s9, s7
	s_wait_alu 0xfffe
	s_fmamk_f32 s8, s6, 0x3fb8aa3b, s8
	s_cmp_nlt_f32 s6, 0xc2ce8ed0
	s_sub_f32 s7, s7, s9
	s_wait_alu 0xfffe
	s_fmamk_f32 s8, s6, 0x32a5705f, s8
	s_wait_alu 0xfffe
	s_delay_alu instid0(SALU_CYCLE_2) | instskip(SKIP_2) | instid1(SALU_CYCLE_1)
	s_add_f32 s7, s7, s8
	s_cvt_i32_f32 s8, s9
	s_wait_alu 0xfffe
	v_s_exp_f32 s7, s7
	s_wait_alu 0xf1ff
	s_delay_alu instid0(TRANS32_DEP_1) | instskip(NEXT) | instid1(VALU_DEP_1)
	v_ldexp_f32 v6, s7, s8
	v_readfirstlane_b32 s7, v6
	s_cselect_b32 s7, s7, 0
	s_cmp_ngt_f32 s6, 0x42b17218
	s_wait_alu 0xfffe
	s_cselect_b32 s5, s7, 0x7f800000
	s_wait_alu 0xfffe
	s_mov_b32 s6, s5
	v_cmp_class_f32_e64 s7, s5, 0x204
	s_wait_alu 0xfffe
	s_fmac_f32 s6, s5, s1
	s_and_b32 s1, s7, exec_lo
	s_wait_alu 0xfffe
	s_delay_alu instid0(SALU_CYCLE_1)
	s_cselect_b32 s1, s5, s6
	s_wait_alu 0xfffe
	s_bitset0_b32 s1, 31
	s_wait_alu 0xfffe
	s_cvt_i32_f32 s1, s1
	s_wait_alu 0xfffe
	s_delay_alu instid0(SALU_CYCLE_2)
	s_lshl_b32 s1, s1, 2
	s_wait_alu 0xfffe
	v_add_nc_u32_e32 v5, s1, v5
	s_add_co_i32 s1, s0, 1
	s_cmp_lt_u32 s0, 6
	s_cselect_b32 s0, -1, 0
	ds_load_b32 v5, v5
	s_wait_dscnt 0x0
	v_cvt_i32_f32_e32 v5, v5
	s_delay_alu instid0(VALU_DEP_1)
	v_cmp_gt_u32_e32 vcc_lo, 0x80, v5
	s_wait_alu 0xfffe
	s_and_b32 s0, s0, vcc_lo
	s_wait_alu 0xfffe
	s_and_b32 vcc_lo, exec_lo, s0
	s_mov_b32 s0, s1
	s_wait_alu 0xfffe
	s_cbranch_vccnz .LBB1_211
.LBB1_212:
	v_cvt_f32_i32_e32 v5, v5
	v_mov_b32_e32 v6, 0
	ds_store_b32 v6, v5
.LBB1_213:
	s_wait_alu 0xfffe
	s_or_b32 exec_lo, exec_lo, s4
	v_mov_b32_e32 v5, 0
	s_wait_storecnt 0x0
	s_wait_loadcnt_dscnt 0x0
	s_barrier_signal -1
	s_barrier_wait -1
	global_inv scope:SCOPE_SE
	ds_load_b32 v6, v5
	s_wait_kmcnt 0x0
	s_mov_b32 s1, 0
	s_mov_b32 s0, exec_lo
	s_wait_dscnt 0x0
	v_cvt_i32_f32_e32 v6, v6
	s_delay_alu instid0(VALU_DEP_1)
	v_cmpx_eq_u32_e64 v0, v6
	s_cbranch_execz .LBB1_215
; %bb.214:
	s_wait_alu 0xfffe
	s_lshl_b32 s0, ttmp9, 2
	s_wait_alu 0xfffe
	s_lshl_b64 s[0:1], s[0:1], 2
	s_wait_alu 0xfffe
	s_add_nc_u64 s[0:1], s[2:3], s[0:1]
	global_store_b128 v5, v[1:4], s[0:1]
.LBB1_215:
	s_endpgm
.LBB1_216:
	v_cmp_nlt_f32_e64 s3, v6, v5
	v_cmp_ngt_f32_e64 s4, 0, v5
	v_cmp_gt_f32_e64 s2, 0, v5
	s_mov_b32 s7, 0
	s_or_b32 s8, s3, s4
	s_mov_b32 s3, -1
	s_wait_alu 0xfffe
	s_and_saveexec_b32 s4, s8
	s_cbranch_execz .LBB1_220
; %bb.217:
	v_cmp_nlt_f32_e64 s3, 0, v5
	s_xor_b32 s9, vcc_lo, -1
	s_mov_b32 s8, -1
	s_wait_alu 0xfffe
	s_or_b32 s9, s9, s3
	s_wait_alu 0xfffe
	s_and_saveexec_b32 s3, s9
; %bb.218:
	v_cmp_lt_f32_e32 vcc_lo, 0, v6
	s_xor_b32 s8, exec_lo, -1
	s_and_b32 s2, vcc_lo, s2
	s_wait_alu 0xfffe
	s_and_b32 s7, s2, exec_lo
; %bb.219:
	s_or_b32 exec_lo, exec_lo, s3
	s_wait_alu 0xfffe
	s_or_not1_b32 s3, s7, exec_lo
	s_and_b32 s7, s8, exec_lo
.LBB1_220:
	s_wait_alu 0xfffe
	s_or_b32 exec_lo, exec_lo, s4
	s_delay_alu instid0(SALU_CYCLE_1)
	s_and_b32 s4, s3, exec_lo
	s_or_not1_b32 s2, s7, exec_lo
	s_or_b32 exec_lo, exec_lo, s6
	v_mov_b32_e32 v5, v7
	s_wait_alu 0xfffe
	s_and_saveexec_b32 s3, s2
	s_cbranch_execz .LBB1_171
.LBB1_221:
	v_or_b32_e32 v5, 0x80, v0
	s_or_b32 s4, s4, exec_lo
	ds_store_b32 v8, v6
	v_cvt_f32_u32_e32 v5, v5
	s_wait_alu 0xfffe
	s_or_b32 exec_lo, exec_lo, s3
	s_delay_alu instid0(SALU_CYCLE_1)
	s_and_b32 exec_lo, exec_lo, s4
	s_cbranch_execnz .LBB1_172
	s_branch .LBB1_173
.LBB1_222:
	v_cmp_nlt_f32_e64 s3, v6, v5
	v_cmp_ngt_f32_e64 s4, 0, v5
	v_cmp_gt_f32_e64 s2, 0, v5
	s_mov_b32 s7, 0
	s_or_b32 s8, s3, s4
	s_mov_b32 s3, -1
	s_wait_alu 0xfffe
	s_and_saveexec_b32 s4, s8
	s_cbranch_execz .LBB1_226
; %bb.223:
	v_cmp_nlt_f32_e64 s3, 0, v5
	s_xor_b32 s9, vcc_lo, -1
	s_mov_b32 s8, -1
	s_wait_alu 0xfffe
	s_or_b32 s9, s9, s3
	s_wait_alu 0xfffe
	s_and_saveexec_b32 s3, s9
; %bb.224:
	v_cmp_lt_f32_e32 vcc_lo, 0, v6
	s_xor_b32 s8, exec_lo, -1
	s_and_b32 s2, vcc_lo, s2
	s_wait_alu 0xfffe
	s_and_b32 s7, s2, exec_lo
; %bb.225:
	s_or_b32 exec_lo, exec_lo, s3
	s_wait_alu 0xfffe
	s_or_not1_b32 s3, s7, exec_lo
	s_and_b32 s7, s8, exec_lo
.LBB1_226:
	s_wait_alu 0xfffe
	s_or_b32 exec_lo, exec_lo, s4
	s_delay_alu instid0(SALU_CYCLE_1)
	s_and_b32 s4, s3, exec_lo
	s_or_not1_b32 s2, s7, exec_lo
	s_or_b32 exec_lo, exec_lo, s6
	v_mov_b32_e32 v5, v7
	s_wait_alu 0xfffe
	s_and_saveexec_b32 s3, s2
	s_cbranch_execz .LBB1_176
.LBB1_227:
	v_or_b32_e32 v5, 64, v0
	s_or_b32 s4, s4, exec_lo
	ds_store_b32 v8, v6
	v_cvt_f32_u32_e32 v5, v5
	s_wait_alu 0xfffe
	s_or_b32 exec_lo, exec_lo, s3
	s_delay_alu instid0(SALU_CYCLE_1)
	s_and_b32 exec_lo, exec_lo, s4
	s_cbranch_execnz .LBB1_177
	s_branch .LBB1_178
.LBB1_228:
	v_cmp_nlt_f32_e64 s3, v6, v5
	v_cmp_ngt_f32_e64 s4, 0, v5
	v_cmp_gt_f32_e64 s2, 0, v5
	s_mov_b32 s7, 0
	s_or_b32 s8, s3, s4
	s_mov_b32 s3, -1
	s_wait_alu 0xfffe
	s_and_saveexec_b32 s4, s8
	s_cbranch_execz .LBB1_232
; %bb.229:
	v_cmp_nlt_f32_e64 s3, 0, v5
	s_xor_b32 s9, vcc_lo, -1
	s_mov_b32 s8, -1
	s_wait_alu 0xfffe
	s_or_b32 s9, s9, s3
	s_wait_alu 0xfffe
	s_and_saveexec_b32 s3, s9
; %bb.230:
	v_cmp_lt_f32_e32 vcc_lo, 0, v6
	s_xor_b32 s8, exec_lo, -1
	s_and_b32 s2, vcc_lo, s2
	s_wait_alu 0xfffe
	s_and_b32 s7, s2, exec_lo
; %bb.231:
	s_or_b32 exec_lo, exec_lo, s3
	s_wait_alu 0xfffe
	s_or_not1_b32 s3, s7, exec_lo
	s_and_b32 s7, s8, exec_lo
.LBB1_232:
	s_wait_alu 0xfffe
	s_or_b32 exec_lo, exec_lo, s4
	s_delay_alu instid0(SALU_CYCLE_1)
	s_and_b32 s4, s3, exec_lo
	s_or_not1_b32 s2, s7, exec_lo
	s_or_b32 exec_lo, exec_lo, s6
	v_mov_b32_e32 v5, v7
	s_wait_alu 0xfffe
	s_and_saveexec_b32 s3, s2
	s_cbranch_execz .LBB1_181
.LBB1_233:
	v_or_b32_e32 v5, 32, v0
	s_or_b32 s4, s4, exec_lo
	ds_store_b32 v8, v6
	v_cvt_f32_u32_e32 v5, v5
	s_wait_alu 0xfffe
	s_or_b32 exec_lo, exec_lo, s3
	s_delay_alu instid0(SALU_CYCLE_1)
	s_and_b32 exec_lo, exec_lo, s4
	s_cbranch_execnz .LBB1_182
	s_branch .LBB1_183
.LBB1_234:
	v_cmp_nlt_f32_e64 s3, v6, v5
	v_cmp_ngt_f32_e64 s4, 0, v5
	v_cmp_gt_f32_e64 s2, 0, v5
	s_mov_b32 s7, 0
	s_or_b32 s8, s3, s4
	s_mov_b32 s3, -1
	s_wait_alu 0xfffe
	s_and_saveexec_b32 s4, s8
	s_cbranch_execz .LBB1_238
; %bb.235:
	v_cmp_nlt_f32_e64 s3, 0, v5
	s_xor_b32 s9, vcc_lo, -1
	s_mov_b32 s8, -1
	s_wait_alu 0xfffe
	s_or_b32 s9, s9, s3
	s_wait_alu 0xfffe
	s_and_saveexec_b32 s3, s9
; %bb.236:
	v_cmp_lt_f32_e32 vcc_lo, 0, v6
	s_xor_b32 s8, exec_lo, -1
	s_and_b32 s2, vcc_lo, s2
	s_wait_alu 0xfffe
	s_and_b32 s7, s2, exec_lo
; %bb.237:
	s_or_b32 exec_lo, exec_lo, s3
	s_wait_alu 0xfffe
	s_or_not1_b32 s3, s7, exec_lo
	s_and_b32 s7, s8, exec_lo
.LBB1_238:
	s_wait_alu 0xfffe
	s_or_b32 exec_lo, exec_lo, s4
	s_delay_alu instid0(SALU_CYCLE_1)
	s_and_b32 s4, s3, exec_lo
	s_or_not1_b32 s2, s7, exec_lo
	s_or_b32 exec_lo, exec_lo, s6
	v_mov_b32_e32 v5, v7
	s_wait_alu 0xfffe
	s_and_saveexec_b32 s3, s2
	s_cbranch_execz .LBB1_186
.LBB1_239:
	v_or_b32_e32 v5, 16, v0
	s_or_b32 s4, s4, exec_lo
	ds_store_b32 v8, v6
	v_cvt_f32_u32_e32 v5, v5
	s_wait_alu 0xfffe
	s_or_b32 exec_lo, exec_lo, s3
	s_delay_alu instid0(SALU_CYCLE_1)
	s_and_b32 exec_lo, exec_lo, s4
	s_cbranch_execnz .LBB1_187
	s_branch .LBB1_188
.LBB1_240:
	v_cmp_nlt_f32_e64 s3, v6, v5
	v_cmp_ngt_f32_e64 s4, 0, v5
	v_cmp_gt_f32_e64 s2, 0, v5
	s_mov_b32 s7, 0
	s_or_b32 s8, s3, s4
	s_mov_b32 s3, -1
	s_wait_alu 0xfffe
	s_and_saveexec_b32 s4, s8
	s_cbranch_execz .LBB1_244
; %bb.241:
	v_cmp_nlt_f32_e64 s3, 0, v5
	s_xor_b32 s9, vcc_lo, -1
	s_mov_b32 s8, -1
	s_wait_alu 0xfffe
	s_or_b32 s9, s9, s3
	s_wait_alu 0xfffe
	s_and_saveexec_b32 s3, s9
; %bb.242:
	v_cmp_lt_f32_e32 vcc_lo, 0, v6
	s_xor_b32 s8, exec_lo, -1
	s_and_b32 s2, vcc_lo, s2
	s_wait_alu 0xfffe
	s_and_b32 s7, s2, exec_lo
; %bb.243:
	s_or_b32 exec_lo, exec_lo, s3
	s_wait_alu 0xfffe
	s_or_not1_b32 s3, s7, exec_lo
	s_and_b32 s7, s8, exec_lo
.LBB1_244:
	s_wait_alu 0xfffe
	s_or_b32 exec_lo, exec_lo, s4
	s_delay_alu instid0(SALU_CYCLE_1)
	s_and_b32 s4, s3, exec_lo
	s_or_not1_b32 s2, s7, exec_lo
	s_or_b32 exec_lo, exec_lo, s6
	v_mov_b32_e32 v5, v7
	s_wait_alu 0xfffe
	s_and_saveexec_b32 s3, s2
	s_cbranch_execz .LBB1_191
.LBB1_245:
	v_or_b32_e32 v5, 8, v0
	s_or_b32 s4, s4, exec_lo
	ds_store_b32 v8, v6
	v_cvt_f32_u32_e32 v5, v5
	s_wait_alu 0xfffe
	s_or_b32 exec_lo, exec_lo, s3
	s_delay_alu instid0(SALU_CYCLE_1)
	s_and_b32 exec_lo, exec_lo, s4
	s_cbranch_execnz .LBB1_192
	s_branch .LBB1_193
.LBB1_246:
	v_cmp_nlt_f32_e64 s3, v6, v5
	v_cmp_ngt_f32_e64 s4, 0, v5
	v_cmp_gt_f32_e64 s2, 0, v5
	s_mov_b32 s7, 0
	s_or_b32 s8, s3, s4
	s_mov_b32 s3, -1
	s_wait_alu 0xfffe
	s_and_saveexec_b32 s4, s8
	s_cbranch_execz .LBB1_250
; %bb.247:
	v_cmp_nlt_f32_e64 s3, 0, v5
	s_xor_b32 s9, vcc_lo, -1
	s_mov_b32 s8, -1
	s_wait_alu 0xfffe
	s_or_b32 s9, s9, s3
	s_wait_alu 0xfffe
	s_and_saveexec_b32 s3, s9
; %bb.248:
	v_cmp_lt_f32_e32 vcc_lo, 0, v6
	s_xor_b32 s8, exec_lo, -1
	s_and_b32 s2, vcc_lo, s2
	s_wait_alu 0xfffe
	s_and_b32 s7, s2, exec_lo
; %bb.249:
	s_or_b32 exec_lo, exec_lo, s3
	s_wait_alu 0xfffe
	s_or_not1_b32 s3, s7, exec_lo
	s_and_b32 s7, s8, exec_lo
.LBB1_250:
	s_wait_alu 0xfffe
	s_or_b32 exec_lo, exec_lo, s4
	s_delay_alu instid0(SALU_CYCLE_1)
	s_and_b32 s4, s3, exec_lo
	s_or_not1_b32 s2, s7, exec_lo
	s_or_b32 exec_lo, exec_lo, s6
	v_mov_b32_e32 v5, v7
	s_wait_alu 0xfffe
	s_and_saveexec_b32 s3, s2
	s_cbranch_execz .LBB1_196
.LBB1_251:
	v_or_b32_e32 v5, 4, v0
	s_or_b32 s4, s4, exec_lo
	ds_store_b32 v8, v6
	v_cvt_f32_u32_e32 v5, v5
	s_wait_alu 0xfffe
	s_or_b32 exec_lo, exec_lo, s3
	s_delay_alu instid0(SALU_CYCLE_1)
	s_and_b32 exec_lo, exec_lo, s4
	s_cbranch_execnz .LBB1_197
	s_branch .LBB1_198
.LBB1_252:
	v_cmp_nlt_f32_e64 s3, v6, v5
	v_cmp_ngt_f32_e64 s4, 0, v5
	v_cmp_gt_f32_e64 s2, 0, v5
	s_mov_b32 s7, 0
	s_or_b32 s8, s3, s4
	s_mov_b32 s3, -1
	s_wait_alu 0xfffe
	s_and_saveexec_b32 s4, s8
	s_cbranch_execz .LBB1_256
; %bb.253:
	v_cmp_nlt_f32_e64 s3, 0, v5
	s_xor_b32 s9, vcc_lo, -1
	s_mov_b32 s8, -1
	s_wait_alu 0xfffe
	s_or_b32 s9, s9, s3
	s_wait_alu 0xfffe
	s_and_saveexec_b32 s3, s9
; %bb.254:
	v_cmp_lt_f32_e32 vcc_lo, 0, v6
	s_xor_b32 s8, exec_lo, -1
	s_and_b32 s2, vcc_lo, s2
	s_wait_alu 0xfffe
	s_and_b32 s7, s2, exec_lo
; %bb.255:
	s_or_b32 exec_lo, exec_lo, s3
	s_wait_alu 0xfffe
	s_or_not1_b32 s3, s7, exec_lo
	s_and_b32 s7, s8, exec_lo
.LBB1_256:
	s_wait_alu 0xfffe
	s_or_b32 exec_lo, exec_lo, s4
	s_delay_alu instid0(SALU_CYCLE_1)
	s_and_b32 s4, s3, exec_lo
	s_or_not1_b32 s2, s7, exec_lo
	s_or_b32 exec_lo, exec_lo, s6
	v_mov_b32_e32 v5, v7
	s_wait_alu 0xfffe
	s_and_saveexec_b32 s3, s2
	s_cbranch_execz .LBB1_201
.LBB1_257:
	v_or_b32_e32 v5, 2, v0
	s_or_b32 s4, s4, exec_lo
	ds_store_b32 v8, v6
	v_cvt_f32_u32_e32 v5, v5
	s_wait_alu 0xfffe
	s_or_b32 exec_lo, exec_lo, s3
	s_delay_alu instid0(SALU_CYCLE_1)
	s_and_b32 exec_lo, exec_lo, s4
	s_cbranch_execnz .LBB1_202
	s_branch .LBB1_203
.LBB1_258:
	v_cmp_nlt_f32_e64 s3, v5, v6
	v_cmp_ngt_f32_e64 s4, 0, v6
	v_cmp_gt_f32_e64 s2, 0, v6
	s_mov_b32 s8, 0
	s_or_b32 s9, s3, s4
	s_mov_b32 s3, -1
	s_wait_alu 0xfffe
	s_and_saveexec_b32 s4, s9
	s_cbranch_execz .LBB1_262
; %bb.259:
	v_cmp_nlt_f32_e64 s3, 0, v6
	s_xor_b32 s9, s7, -1
	s_mov_b32 s7, -1
	s_wait_alu 0xfffe
	s_or_b32 s3, s9, s3
	s_wait_alu 0xfffe
	s_and_saveexec_b32 s9, s3
; %bb.260:
	v_cmp_lt_f32_e64 s3, 0, v5
	s_xor_b32 s7, exec_lo, -1
	s_and_b32 s2, s3, s2
	s_wait_alu 0xfffe
	s_and_b32 s8, s2, exec_lo
; %bb.261:
	s_or_b32 exec_lo, exec_lo, s9
	s_wait_alu 0xfffe
	s_or_not1_b32 s3, s8, exec_lo
	s_and_b32 s8, s7, exec_lo
.LBB1_262:
	s_wait_alu 0xfffe
	s_or_b32 exec_lo, exec_lo, s4
	s_delay_alu instid0(SALU_CYCLE_1)
	s_and_b32 s3, s3, exec_lo
	s_or_not1_b32 s2, s8, exec_lo
	s_or_b32 exec_lo, exec_lo, s6
	s_wait_alu 0xfffe
	s_and_saveexec_b32 s4, s2
	s_cbranch_execz .LBB1_206
.LBB1_263:
	v_mov_b32_e32 v7, 1.0
	s_or_b32 s3, s3, exec_lo
	ds_store_b32 v8, v5
	s_wait_alu 0xfffe
	s_or_b32 exec_lo, exec_lo, s4
	s_delay_alu instid0(SALU_CYCLE_1)
	s_and_b32 exec_lo, exec_lo, s3
	s_cbranch_execnz .LBB1_207
	s_branch .LBB1_208
	.section	.rodata,"a",@progbits
	.p2align	6, 0x0
	.amdhsa_kernel _Z13computeKerneliiPKfPKbiiPfPi
		.amdhsa_group_segment_fixed_size 0
		.amdhsa_private_segment_fixed_size 224
		.amdhsa_kernarg_size 48
		.amdhsa_user_sgpr_count 2
		.amdhsa_user_sgpr_dispatch_ptr 0
		.amdhsa_user_sgpr_queue_ptr 0
		.amdhsa_user_sgpr_kernarg_segment_ptr 1
		.amdhsa_user_sgpr_dispatch_id 0
		.amdhsa_user_sgpr_private_segment_size 0
		.amdhsa_wavefront_size32 1
		.amdhsa_uses_dynamic_stack 0
		.amdhsa_enable_private_segment 1
		.amdhsa_system_sgpr_workgroup_id_x 1
		.amdhsa_system_sgpr_workgroup_id_y 0
		.amdhsa_system_sgpr_workgroup_id_z 0
		.amdhsa_system_sgpr_workgroup_info 0
		.amdhsa_system_vgpr_workitem_id 0
		.amdhsa_next_free_vgpr 28
		.amdhsa_next_free_sgpr 26
		.amdhsa_reserve_vcc 1
		.amdhsa_float_round_mode_32 0
		.amdhsa_float_round_mode_16_64 0
		.amdhsa_float_denorm_mode_32 3
		.amdhsa_float_denorm_mode_16_64 3
		.amdhsa_fp16_overflow 0
		.amdhsa_workgroup_processor_mode 1
		.amdhsa_memory_ordered 1
		.amdhsa_forward_progress 1
		.amdhsa_inst_pref_size 79
		.amdhsa_round_robin_scheduling 0
		.amdhsa_exception_fp_ieee_invalid_op 0
		.amdhsa_exception_fp_denorm_src 0
		.amdhsa_exception_fp_ieee_div_zero 0
		.amdhsa_exception_fp_ieee_overflow 0
		.amdhsa_exception_fp_ieee_underflow 0
		.amdhsa_exception_fp_ieee_inexact 0
		.amdhsa_exception_int_div_zero 0
	.end_amdhsa_kernel
	.text
.Lfunc_end1:
	.size	_Z13computeKerneliiPKfPKbiiPfPi, .Lfunc_end1-_Z13computeKerneliiPKfPKbiiPfPi
                                        ; -- End function
	.set _Z13computeKerneliiPKfPKbiiPfPi.num_vgpr, 28
	.set _Z13computeKerneliiPKfPKbiiPfPi.num_agpr, 0
	.set _Z13computeKerneliiPKfPKbiiPfPi.numbered_sgpr, 26
	.set _Z13computeKerneliiPKfPKbiiPfPi.num_named_barrier, 0
	.set _Z13computeKerneliiPKfPKbiiPfPi.private_seg_size, 224
	.set _Z13computeKerneliiPKfPKbiiPfPi.uses_vcc, 1
	.set _Z13computeKerneliiPKfPKbiiPfPi.uses_flat_scratch, 1
	.set _Z13computeKerneliiPKfPKbiiPfPi.has_dyn_sized_stack, 0
	.set _Z13computeKerneliiPKfPKbiiPfPi.has_recursion, 0
	.set _Z13computeKerneliiPKfPKbiiPfPi.has_indirect_call, 0
	.section	.AMDGPU.csdata,"",@progbits
; Kernel info:
; codeLenInByte = 10040
; TotalNumSgprs: 28
; NumVgprs: 28
; ScratchSize: 224
; MemoryBound: 0
; FloatMode: 240
; IeeeMode: 1
; LDSByteSize: 0 bytes/workgroup (compile time only)
; SGPRBlocks: 0
; VGPRBlocks: 3
; NumSGPRsForWavesPerEU: 28
; NumVGPRsForWavesPerEU: 28
; Occupancy: 16
; WaveLimiterHint : 0
; COMPUTE_PGM_RSRC2:SCRATCH_EN: 1
; COMPUTE_PGM_RSRC2:USER_SGPR: 2
; COMPUTE_PGM_RSRC2:TRAP_HANDLER: 0
; COMPUTE_PGM_RSRC2:TGID_X_EN: 1
; COMPUTE_PGM_RSRC2:TGID_Y_EN: 0
; COMPUTE_PGM_RSRC2:TGID_Z_EN: 0
; COMPUTE_PGM_RSRC2:TIDIG_COMP_CNT: 0
	.text
	.p2alignl 7, 3214868480
	.fill 96, 4, 3214868480
	.section	.AMDGPU.gpr_maximums,"",@progbits
	.set amdgpu.max_num_vgpr, 0
	.set amdgpu.max_num_agpr, 0
	.set amdgpu.max_num_sgpr, 0
	.text
	.type	__const._Z13computeKerneliiPKfPKbiiPfPi.parent,@object ; @__const._Z13computeKerneliiPKfPKbiiPfPi.parent
	.section	.rodata,"a",@progbits
	.p2align	4, 0x0
__const._Z13computeKerneliiPKfPKbiiPfPi.parent:
	.long	4294967295                      ; 0xffffffff
	.long	0                               ; 0x0
	.long	0                               ; 0x0
	;; [unrolled: 1-line block ×4, first 2 shown]
	.size	__const._Z13computeKerneliiPKfPKbiiPfPi.parent, 20

	.type	__hip_cuid_5eec607535ce71de,@object ; @__hip_cuid_5eec607535ce71de
	.section	.bss,"aw",@nobits
	.globl	__hip_cuid_5eec607535ce71de
__hip_cuid_5eec607535ce71de:
	.byte	0                               ; 0x0
	.size	__hip_cuid_5eec607535ce71de, 1

	.ident	"AMD clang version 22.0.0git (https://github.com/RadeonOpenCompute/llvm-project roc-7.2.4 26084 f58b06dce1f9c15707c5f808fd002e18c2accf7e)"
	.section	".note.GNU-stack","",@progbits
	.addrsig
	.addrsig_sym __hip_cuid_5eec607535ce71de
	.amdgpu_metadata
---
amdhsa.kernels:
  - .args:
      - .offset:         0
        .size:           4
        .value_kind:     by_value
      - .address_space:  global
        .offset:         8
        .size:           8
        .value_kind:     global_buffer
      - .address_space:  global
        .offset:         16
        .size:           8
        .value_kind:     global_buffer
      - .address_space:  global
        .offset:         24
        .size:           8
        .value_kind:     global_buffer
    .group_segment_fixed_size: 0
    .kernarg_segment_align: 8
    .kernarg_segment_size: 32
    .language:       OpenCL C
    .language_version:
      - 2
      - 0
    .max_flat_workgroup_size: 1024
    .name:           _Z14genScoreKerneliPfPKiPKf
    .private_segment_fixed_size: 192
    .sgpr_count:     36
    .sgpr_spill_count: 0
    .symbol:         _Z14genScoreKerneliPfPKiPKf.kd
    .uniform_work_group_size: 1
    .uses_dynamic_stack: false
    .vgpr_count:     67
    .vgpr_spill_count: 0
    .wavefront_size: 32
    .workgroup_processor_mode: 1
  - .args:
      - .offset:         0
        .size:           4
        .value_kind:     by_value
      - .offset:         4
        .size:           4
        .value_kind:     by_value
      - .address_space:  global
        .offset:         8
        .size:           8
        .value_kind:     global_buffer
      - .address_space:  global
        .offset:         16
        .size:           8
        .value_kind:     global_buffer
      - .offset:         24
        .size:           4
        .value_kind:     by_value
      - .offset:         28
        .size:           4
        .value_kind:     by_value
      - .address_space:  global
        .offset:         32
        .size:           8
        .value_kind:     global_buffer
      - .address_space:  global
        .offset:         40
        .size:           8
        .value_kind:     global_buffer
    .group_segment_fixed_size: 0
    .kernarg_segment_align: 8
    .kernarg_segment_size: 48
    .language:       OpenCL C
    .language_version:
      - 2
      - 0
    .max_flat_workgroup_size: 1024
    .name:           _Z13computeKerneliiPKfPKbiiPfPi
    .private_segment_fixed_size: 224
    .sgpr_count:     28
    .sgpr_spill_count: 0
    .symbol:         _Z13computeKerneliiPKfPKbiiPfPi.kd
    .uniform_work_group_size: 1
    .uses_dynamic_stack: false
    .vgpr_count:     28
    .vgpr_spill_count: 0
    .wavefront_size: 32
    .workgroup_processor_mode: 1
amdhsa.target:   amdgcn-amd-amdhsa--gfx1201
amdhsa.version:
  - 1
  - 2
...

	.end_amdgpu_metadata
